;; amdgpu-corpus repo=ROCm/rocFFT kind=compiled arch=gfx906 opt=O3
	.text
	.amdgcn_target "amdgcn-amd-amdhsa--gfx906"
	.amdhsa_code_object_version 6
	.protected	bluestein_single_fwd_len1200_dim1_sp_op_CI_CI ; -- Begin function bluestein_single_fwd_len1200_dim1_sp_op_CI_CI
	.globl	bluestein_single_fwd_len1200_dim1_sp_op_CI_CI
	.p2align	8
	.type	bluestein_single_fwd_len1200_dim1_sp_op_CI_CI,@function
bluestein_single_fwd_len1200_dim1_sp_op_CI_CI: ; @bluestein_single_fwd_len1200_dim1_sp_op_CI_CI
; %bb.0:
	v_mul_u32_u24_e32 v1, 0x36a, v0
	s_load_dwordx4 s[8:11], s[4:5], 0x28
	v_lshrrev_b32_e32 v1, 16, v1
	v_mad_u64_u32 v[151:152], s[0:1], s6, 3, v[1:2]
	v_mov_b32_e32 v152, 0
	s_waitcnt lgkmcnt(0)
	v_cmp_gt_u64_e32 vcc, s[8:9], v[151:152]
	s_and_saveexec_b64 s[0:1], vcc
	s_cbranch_execz .LBB0_31
; %bb.1:
	s_load_dwordx4 s[12:15], s[4:5], 0x18
	v_mul_lo_u16_e32 v1, 0x4b, v1
	v_sub_u16_e32 v165, v0, v1
	v_lshlrev_b32_e32 v36, 3, v165
	s_waitcnt lgkmcnt(0)
	s_load_dwordx4 s[0:3], s[12:13], 0x0
	s_nop 0
	s_load_dwordx2 s[12:13], s[4:5], 0x0
	s_waitcnt lgkmcnt(0)
	v_mad_u64_u32 v[0:1], s[6:7], s2, v151, 0
	v_mad_u64_u32 v[2:3], s[6:7], s0, v165, 0
	s_mul_i32 s6, s1, 0xf0
	s_mul_hi_u32 s7, s0, 0xf0
	v_mad_u64_u32 v[4:5], s[2:3], s3, v151, v[1:2]
	s_add_i32 s7, s7, s6
	s_mul_i32 s6, s0, 0xf0
	v_mad_u64_u32 v[5:6], s[2:3], s1, v165, v[3:4]
	v_mov_b32_e32 v1, v4
	v_lshlrev_b64 v[0:1], 3, v[0:1]
	v_mov_b32_e32 v6, s11
	v_mov_b32_e32 v3, v5
	v_add_co_u32_e32 v4, vcc, s10, v0
	v_addc_co_u32_e32 v5, vcc, v6, v1, vcc
	v_lshlrev_b64 v[0:1], 3, v[2:3]
	v_mov_b32_e32 v2, s13
	v_add_co_u32_e32 v0, vcc, v4, v0
	v_add_co_u32_e64 v127, s[2:3], s12, v36
	v_addc_co_u32_e32 v1, vcc, v5, v1, vcc
	v_addc_co_u32_e64 v128, vcc, 0, v2, s[2:3]
	s_lshl_b64 s[16:17], s[6:7], 3
	v_mov_b32_e32 v34, s17
	v_add_co_u32_e32 v2, vcc, s16, v0
	v_addc_co_u32_e32 v3, vcc, v1, v34, vcc
	v_add_co_u32_e32 v4, vcc, s16, v2
	v_addc_co_u32_e32 v5, vcc, v3, v34, vcc
	;; [unrolled: 2-line block ×3, first 2 shown]
	s_movk_i32 s6, 0x1000
	global_load_dwordx2 v[158:159], v36, s[12:13]
	global_load_dwordx2 v[156:157], v36, s[12:13] offset:1920
	global_load_dwordx2 v[154:155], v36, s[12:13] offset:3840
	global_load_dwordx2 v[8:9], v[0:1], off
	global_load_dwordx2 v[10:11], v[2:3], off
	;; [unrolled: 1-line block ×4, first 2 shown]
	v_add_co_u32_e32 v0, vcc, s6, v127
	s_mul_hi_u32 s6, s0, 0xfffffc8b
	v_addc_co_u32_e32 v1, vcc, 0, v128, vcc
	s_mulk_i32 s1, 0xfc8b
	s_sub_i32 s6, s6, s0
	v_add_co_u32_e32 v2, vcc, s16, v6
	s_add_i32 s1, s6, s1
	s_mulk_i32 s0, 0xfc8b
	v_addc_co_u32_e32 v3, vcc, v7, v34, vcc
	s_lshl_b64 s[18:19], s[0:1], 3
	global_load_dwordx2 v[152:153], v[0:1], off offset:1664
	global_load_dwordx2 v[4:5], v[2:3], off
	global_load_dwordx2 v[147:148], v[0:1], off offset:3584
	v_mov_b32_e32 v26, s19
	v_add_co_u32_e32 v2, vcc, s18, v2
	v_addc_co_u32_e32 v3, vcc, v3, v26, vcc
	global_load_dwordx2 v[6:7], v[2:3], off
	global_load_dwordx2 v[149:150], v36, s[12:13] offset:600
	v_add_co_u32_e32 v2, vcc, s16, v2
	v_addc_co_u32_e32 v3, vcc, v3, v34, vcc
	global_load_dwordx2 v[16:17], v[2:3], off
	global_load_dwordx2 v[145:146], v36, s[12:13] offset:2520
	v_add_co_u32_e32 v2, vcc, s16, v2
	v_addc_co_u32_e32 v3, vcc, v3, v34, vcc
	global_load_dwordx2 v[18:19], v[2:3], off
	global_load_dwordx2 v[143:144], v[0:1], off offset:344
	v_add_co_u32_e32 v2, vcc, s16, v2
	v_addc_co_u32_e32 v3, vcc, v3, v34, vcc
	global_load_dwordx2 v[20:21], v[2:3], off
	global_load_dwordx2 v[141:142], v[0:1], off offset:2264
	v_add_co_u32_e32 v2, vcc, s16, v2
	v_addc_co_u32_e32 v3, vcc, v3, v34, vcc
	s_movk_i32 s0, 0x2000
	v_add_co_u32_e32 v24, vcc, s0, v127
	v_addc_co_u32_e32 v25, vcc, 0, v128, vcc
	global_load_dwordx2 v[22:23], v[2:3], off
	v_add_co_u32_e32 v2, vcc, s18, v2
	global_load_dwordx2 v[139:140], v[24:25], off offset:88
	v_addc_co_u32_e32 v3, vcc, v3, v26, vcc
	global_load_dwordx2 v[26:27], v[2:3], off
	global_load_dwordx2 v[137:138], v36, s[12:13] offset:1200
	v_add_co_u32_e32 v2, vcc, s16, v2
	v_addc_co_u32_e32 v3, vcc, v3, v34, vcc
	global_load_dwordx2 v[28:29], v[2:3], off
	global_load_dwordx2 v[135:136], v36, s[12:13] offset:3120
	v_add_co_u32_e32 v2, vcc, s16, v2
	v_addc_co_u32_e32 v3, vcc, v3, v34, vcc
	global_load_dwordx2 v[30:31], v[2:3], off
	global_load_dwordx2 v[133:134], v[0:1], off offset:944
	v_add_co_u32_e32 v2, vcc, s16, v2
	v_addc_co_u32_e32 v3, vcc, v3, v34, vcc
	global_load_dwordx2 v[32:33], v[2:3], off
	global_load_dwordx2 v[131:132], v[0:1], off offset:2864
	v_add_co_u32_e32 v2, vcc, s16, v2
	v_addc_co_u32_e32 v3, vcc, v3, v34, vcc
	global_load_dwordx2 v[34:35], v[2:3], off
	global_load_dwordx2 v[129:130], v[24:25], off offset:688
	s_mov_b32 s0, 0xaaaaaaab
	v_mul_hi_u32 v24, v151, s0
	s_load_dwordx2 s[6:7], s[4:5], 0x38
	s_load_dwordx4 s[8:11], s[14:15], 0x0
	v_cmp_gt_u16_e64 s[0:1], 15, v165
	v_lshrrev_b32_e32 v24, 1, v24
	v_lshl_add_u32 v24, v24, 1, v24
	v_sub_u32_e32 v24, v151, v24
	v_mul_u32_u24_e32 v25, 0x4b0, v24
	s_waitcnt vmcnt(26)
	v_mul_f32_e32 v24, v9, v159
	v_fmac_f32_e32 v24, v8, v158
	v_mul_f32_e32 v8, v8, v159
	v_lshlrev_b32_e32 v166, 3, v25
	v_fma_f32 v25, v9, v158, -v8
	s_waitcnt vmcnt(25)
	v_mul_f32_e32 v8, v11, v157
	v_mul_f32_e32 v9, v10, v157
	v_add_u32_e32 v164, v36, v166
	v_fmac_f32_e32 v8, v10, v156
	v_fma_f32 v9, v11, v156, -v9
	ds_write_b64 v164, v[8:9] offset:1920
	s_waitcnt vmcnt(24)
	v_mul_f32_e32 v8, v13, v155
	v_mul_f32_e32 v9, v12, v155
	v_fmac_f32_e32 v8, v12, v154
	v_fma_f32 v9, v13, v154, -v9
	ds_write_b64 v164, v[8:9] offset:3840
	s_waitcnt vmcnt(22)
	v_mul_f32_e32 v8, v15, v153
	v_mul_f32_e32 v9, v14, v153
	v_fmac_f32_e32 v8, v14, v152
	v_fma_f32 v9, v15, v152, -v9
	ds_write_b64 v164, v[8:9] offset:5760
	s_waitcnt vmcnt(20)
	v_mul_f32_e32 v8, v5, v148
	v_fmac_f32_e32 v8, v4, v147
	v_mul_f32_e32 v4, v4, v148
	v_fma_f32 v9, v5, v147, -v4
	ds_write_b64 v164, v[8:9] offset:7680
	s_waitcnt vmcnt(18)
	v_mul_f32_e32 v4, v7, v150
	v_mul_f32_e32 v5, v6, v150
	v_fmac_f32_e32 v4, v6, v149
	v_fma_f32 v5, v7, v149, -v5
	ds_write2_b64 v164, v[24:25], v[4:5] offset1:75
	s_waitcnt vmcnt(16)
	v_mul_f32_e32 v4, v17, v146
	v_mul_f32_e32 v5, v16, v146
	v_fmac_f32_e32 v4, v16, v145
	s_waitcnt vmcnt(12)
	v_mul_f32_e32 v8, v20, v142
	v_fma_f32 v12, v21, v141, -v8
	v_fma_f32 v5, v17, v145, -v5
	v_mul_f32_e32 v6, v19, v144
	v_mul_f32_e32 v7, v18, v144
	v_fmac_f32_e32 v6, v18, v143
	v_fma_f32 v7, v19, v143, -v7
	v_mul_f32_e32 v11, v21, v142
	v_fmac_f32_e32 v11, v20, v141
	s_waitcnt vmcnt(10)
	v_mul_f32_e32 v8, v22, v140
	v_fma_f32 v14, v23, v139, -v8
	v_mul_f32_e32 v13, v23, v140
	s_waitcnt vmcnt(8)
	v_mul_f32_e32 v8, v27, v138
	v_mul_f32_e32 v9, v26, v138
	v_fmac_f32_e32 v8, v26, v137
	v_fma_f32 v9, v27, v137, -v9
	ds_write_b64 v164, v[8:9] offset:1200
	s_waitcnt vmcnt(6)
	v_mul_f32_e32 v9, v29, v136
	v_mul_f32_e32 v8, v28, v136
	v_fmac_f32_e32 v9, v28, v135
	v_fma_f32 v10, v29, v135, -v8
	v_add_u32_e32 v8, 0x800, v164
	ds_write2_b64 v8, v[4:5], v[9:10] offset0:59 offset1:134
	s_waitcnt vmcnt(4)
	v_mul_f32_e32 v4, v31, v134
	v_mul_f32_e32 v5, v30, v134
	v_fmac_f32_e32 v4, v30, v133
	v_fma_f32 v5, v31, v133, -v5
	v_add_u32_e32 v10, 0x1000, v164
	ds_write2_b64 v10, v[6:7], v[4:5] offset0:43 offset1:118
	;; [unrolled: 7-line block ×3, first 2 shown]
	s_waitcnt vmcnt(0)
	v_mul_f32_e32 v4, v35, v130
	v_mul_f32_e32 v5, v34, v130
	v_fmac_f32_e32 v13, v22, v139
	v_fmac_f32_e32 v4, v34, v129
	v_fma_f32 v5, v35, v129, -v5
	v_add_u32_e32 v6, 0x2000, v164
	ds_write2_b64 v6, v[13:14], v[4:5] offset0:11 offset1:86
	s_and_saveexec_b64 s[14:15], s[0:1]
	s_cbranch_execz .LBB0_3
; %bb.2:
	v_mov_b32_e32 v4, s19
	v_add_co_u32_e32 v2, vcc, s18, v2
	v_addc_co_u32_e32 v3, vcc, v3, v4, vcc
	global_load_dwordx2 v[4:5], v[2:3], off
	global_load_dwordx2 v[6:7], v[127:128], off offset:1800
	v_mov_b32_e32 v23, s17
	v_add_co_u32_e32 v2, vcc, s16, v2
	v_addc_co_u32_e32 v3, vcc, v3, v23, vcc
	global_load_dwordx2 v[11:12], v[2:3], off
	v_add_co_u32_e32 v2, vcc, s16, v2
	v_addc_co_u32_e32 v3, vcc, v3, v23, vcc
	global_load_dwordx2 v[13:14], v[2:3], off
	;; [unrolled: 3-line block ×3, first 2 shown]
	global_load_dwordx2 v[17:18], v[127:128], off offset:3720
	global_load_dwordx2 v[19:20], v[0:1], off offset:1544
	global_load_dwordx2 v[21:22], v[0:1], off offset:3464
	v_add_co_u32_e32 v0, vcc, s16, v2
	v_addc_co_u32_e32 v1, vcc, v3, v23, vcc
	v_add_co_u32_e32 v2, vcc, 0x2000, v127
	v_addc_co_u32_e32 v3, vcc, 0, v128, vcc
	global_load_dwordx2 v[23:24], v[2:3], off offset:1288
	global_load_dwordx2 v[25:26], v[0:1], off
	v_add_u32_e32 v27, 0x700, v164
	v_add_u32_e32 v28, 0x1600, v164
	s_waitcnt vmcnt(8)
	v_mul_f32_e32 v0, v5, v7
	v_mul_f32_e32 v1, v4, v7
	v_fmac_f32_e32 v0, v4, v6
	v_fma_f32 v1, v5, v6, -v1
	s_waitcnt vmcnt(4)
	v_mul_f32_e32 v2, v12, v18
	v_mul_f32_e32 v3, v11, v18
	v_fmac_f32_e32 v2, v11, v17
	v_fma_f32 v3, v12, v17, -v3
	s_waitcnt vmcnt(3)
	v_mul_f32_e32 v4, v14, v20
	v_mul_f32_e32 v5, v13, v20
	ds_write2_b64 v27, v[0:1], v[2:3] offset0:1 offset1:241
	s_waitcnt vmcnt(2)
	v_mul_f32_e32 v0, v16, v22
	v_mul_f32_e32 v1, v15, v22
	v_fmac_f32_e32 v4, v13, v19
	v_fma_f32 v5, v14, v19, -v5
	s_waitcnt vmcnt(0)
	v_mul_f32_e32 v2, v26, v24
	v_mul_f32_e32 v3, v25, v24
	v_fmac_f32_e32 v0, v15, v21
	v_fma_f32 v1, v16, v21, -v1
	v_fmac_f32_e32 v2, v25, v23
	v_fma_f32 v3, v26, v23, -v3
	ds_write2_b64 v28, v[4:5], v[0:1] offset0:1 offset1:241
	ds_write_b64 v164, v[2:3] offset:9480
.LBB0_3:
	s_or_b64 exec, exec, s[14:15]
	v_add_u32_e32 v11, 0xc00, v164
	s_waitcnt lgkmcnt(0)
	s_barrier
	ds_read2_b64 v[4:7], v164 offset1:75
	ds_read2_b64 v[0:3], v164 offset0:150 offset1:240
	ds_read2_b64 v[24:27], v11 offset0:96 offset1:171
	;; [unrolled: 1-line block ×3, first 2 shown]
	v_add_u32_e32 v10, 0x1c00, v164
	ds_read2_b64 v[28:31], v10 offset0:64 offset1:139
	ds_read2_b64 v[16:19], v8 offset0:59 offset1:134
	;; [unrolled: 1-line block ×3, first 2 shown]
	ds_read_b64 v[32:33], v164 offset:8880
                                        ; implicit-def: $vgpr36
                                        ; implicit-def: $vgpr8
                                        ; implicit-def: $vgpr40
	s_and_saveexec_b64 s[14:15], s[0:1]
	s_cbranch_execz .LBB0_5
; %bb.4:
	v_add_u32_e32 v8, 0x700, v164
	ds_read2_b64 v[36:39], v8 offset0:1 offset1:241
	v_add_u32_e32 v8, 0x1600, v164
	ds_read2_b64 v[8:11], v8 offset0:1 offset1:241
	ds_read_b64 v[40:41], v164 offset:9480
.LBB0_5:
	s_or_b64 exec, exec, s[14:15]
	s_waitcnt lgkmcnt(6)
	v_add_f32_e32 v34, v4, v2
	s_waitcnt lgkmcnt(5)
	v_add_f32_e32 v34, v34, v24
	;; [unrolled: 2-line block ×4, first 2 shown]
	v_add_f32_e32 v34, v24, v14
	v_fma_f32 v44, -0.5, v34, v4
	v_sub_f32_e32 v34, v3, v29
	v_mov_b32_e32 v48, v44
	v_fmac_f32_e32 v48, 0x3f737871, v34
	v_sub_f32_e32 v35, v25, v15
	v_sub_f32_e32 v43, v2, v24
	;; [unrolled: 1-line block ×3, first 2 shown]
	v_fmac_f32_e32 v44, 0xbf737871, v34
	v_fmac_f32_e32 v48, 0x3f167918, v35
	v_add_f32_e32 v43, v43, v45
	v_fmac_f32_e32 v44, 0xbf167918, v35
	v_fmac_f32_e32 v48, 0x3e9e377a, v43
	;; [unrolled: 1-line block ×3, first 2 shown]
	v_add_f32_e32 v43, v2, v28
	v_fma_f32 v4, -0.5, v43, v4
	v_mov_b32_e32 v50, v4
	v_fmac_f32_e32 v50, 0xbf737871, v35
	v_fmac_f32_e32 v4, 0x3f737871, v35
	;; [unrolled: 1-line block ×4, first 2 shown]
	v_add_f32_e32 v34, v5, v3
	v_sub_f32_e32 v43, v24, v2
	v_sub_f32_e32 v45, v14, v28
	v_add_f32_e32 v34, v34, v25
	v_add_f32_e32 v43, v43, v45
	;; [unrolled: 1-line block ×3, first 2 shown]
	v_fmac_f32_e32 v50, 0x3e9e377a, v43
	v_fmac_f32_e32 v4, 0x3e9e377a, v43
	v_add_f32_e32 v43, v34, v29
	v_add_f32_e32 v34, v25, v15
	v_fma_f32 v45, -0.5, v34, v5
	v_sub_f32_e32 v2, v2, v28
	v_mov_b32_e32 v49, v45
	v_fmac_f32_e32 v49, 0xbf737871, v2
	v_sub_f32_e32 v14, v24, v14
	v_sub_f32_e32 v24, v3, v25
	;; [unrolled: 1-line block ×3, first 2 shown]
	v_fmac_f32_e32 v45, 0x3f737871, v2
	v_fmac_f32_e32 v49, 0xbf167918, v14
	v_add_f32_e32 v24, v24, v28
	v_fmac_f32_e32 v45, 0x3f167918, v14
	v_fmac_f32_e32 v49, 0x3e9e377a, v24
	;; [unrolled: 1-line block ×3, first 2 shown]
	v_add_f32_e32 v24, v3, v29
	v_fma_f32 v5, -0.5, v24, v5
	v_mov_b32_e32 v51, v5
	v_fmac_f32_e32 v51, 0x3f737871, v14
	v_sub_f32_e32 v3, v25, v3
	v_sub_f32_e32 v15, v15, v29
	v_fmac_f32_e32 v5, 0xbf737871, v14
	v_fmac_f32_e32 v51, 0xbf167918, v2
	v_add_f32_e32 v3, v3, v15
	v_fmac_f32_e32 v5, 0x3f167918, v2
	v_fmac_f32_e32 v51, 0x3e9e377a, v3
	v_fmac_f32_e32 v5, 0x3e9e377a, v3
	s_waitcnt lgkmcnt(1)
	v_add_f32_e32 v3, v26, v20
	v_fma_f32 v14, -0.5, v3, v6
	v_sub_f32_e32 v3, v17, v31
	v_mov_b32_e32 v24, v14
	v_fmac_f32_e32 v24, 0x3f737871, v3
	v_sub_f32_e32 v15, v27, v21
	v_sub_f32_e32 v25, v16, v26
	;; [unrolled: 1-line block ×3, first 2 shown]
	v_fmac_f32_e32 v14, 0xbf737871, v3
	v_fmac_f32_e32 v24, 0x3f167918, v15
	v_add_f32_e32 v25, v25, v28
	v_fmac_f32_e32 v14, 0xbf167918, v15
	v_fmac_f32_e32 v24, 0x3e9e377a, v25
	;; [unrolled: 1-line block ×3, first 2 shown]
	v_add_f32_e32 v25, v16, v30
	v_add_f32_e32 v2, v6, v16
	v_fma_f32 v6, -0.5, v25, v6
	v_mov_b32_e32 v28, v6
	v_fmac_f32_e32 v28, 0xbf737871, v15
	v_sub_f32_e32 v25, v26, v16
	v_sub_f32_e32 v29, v20, v30
	v_fmac_f32_e32 v6, 0x3f737871, v15
	v_add_f32_e32 v15, v27, v21
	v_fmac_f32_e32 v28, 0x3f167918, v3
	v_add_f32_e32 v25, v25, v29
	v_fmac_f32_e32 v6, 0xbf167918, v3
	v_fma_f32 v15, -0.5, v15, v7
	v_add_f32_e32 v2, v2, v26
	v_fmac_f32_e32 v28, 0x3e9e377a, v25
	v_fmac_f32_e32 v6, 0x3e9e377a, v25
	v_sub_f32_e32 v16, v16, v30
	v_mov_b32_e32 v25, v15
	v_add_f32_e32 v2, v2, v20
	v_fmac_f32_e32 v25, 0xbf737871, v16
	v_sub_f32_e32 v20, v26, v20
	v_sub_f32_e32 v26, v17, v27
	;; [unrolled: 1-line block ×3, first 2 shown]
	v_fmac_f32_e32 v15, 0x3f737871, v16
	v_fmac_f32_e32 v25, 0xbf167918, v20
	v_add_f32_e32 v26, v26, v29
	v_fmac_f32_e32 v15, 0x3f167918, v20
	v_fmac_f32_e32 v25, 0x3e9e377a, v26
	;; [unrolled: 1-line block ×3, first 2 shown]
	v_add_f32_e32 v26, v17, v31
	v_add_f32_e32 v3, v7, v17
	v_fmac_f32_e32 v7, -0.5, v26
	v_add_f32_e32 v3, v3, v27
	v_mov_b32_e32 v29, v7
	v_add_f32_e32 v3, v3, v21
	v_fmac_f32_e32 v29, 0x3f737871, v20
	v_sub_f32_e32 v17, v27, v17
	v_sub_f32_e32 v21, v21, v31
	v_fmac_f32_e32 v7, 0xbf737871, v20
	v_fmac_f32_e32 v29, 0xbf167918, v16
	v_add_f32_e32 v17, v17, v21
	v_fmac_f32_e32 v7, 0x3f167918, v16
	v_fmac_f32_e32 v29, 0x3e9e377a, v17
	;; [unrolled: 1-line block ×3, first 2 shown]
	v_add_f32_e32 v17, v12, v22
	v_fma_f32 v20, -0.5, v17, v0
	s_waitcnt lgkmcnt(0)
	v_sub_f32_e32 v17, v19, v33
	v_mov_b32_e32 v26, v20
	v_add_f32_e32 v2, v2, v30
	v_fmac_f32_e32 v26, 0x3f737871, v17
	v_sub_f32_e32 v21, v13, v23
	v_sub_f32_e32 v27, v18, v12
	;; [unrolled: 1-line block ×3, first 2 shown]
	v_fmac_f32_e32 v20, 0xbf737871, v17
	v_fmac_f32_e32 v26, 0x3f167918, v21
	v_add_f32_e32 v27, v27, v30
	v_fmac_f32_e32 v20, 0xbf167918, v21
	v_fmac_f32_e32 v26, 0x3e9e377a, v27
	;; [unrolled: 1-line block ×3, first 2 shown]
	v_add_f32_e32 v27, v18, v32
	v_add_f32_e32 v16, v0, v18
	v_fma_f32 v0, -0.5, v27, v0
	v_mov_b32_e32 v30, v0
	v_add_f32_e32 v3, v3, v31
	v_fmac_f32_e32 v30, 0xbf737871, v21
	v_sub_f32_e32 v27, v12, v18
	v_sub_f32_e32 v31, v22, v32
	v_fmac_f32_e32 v0, 0x3f737871, v21
	v_add_f32_e32 v21, v13, v23
	v_fmac_f32_e32 v30, 0x3f167918, v17
	v_add_f32_e32 v27, v27, v31
	v_fmac_f32_e32 v0, 0xbf167918, v17
	v_fma_f32 v21, -0.5, v21, v1
	v_add_f32_e32 v16, v16, v12
	v_fmac_f32_e32 v30, 0x3e9e377a, v27
	v_fmac_f32_e32 v0, 0x3e9e377a, v27
	v_sub_f32_e32 v18, v18, v32
	v_mov_b32_e32 v27, v21
	v_add_f32_e32 v16, v16, v22
	v_fmac_f32_e32 v27, 0xbf737871, v18
	v_sub_f32_e32 v12, v12, v22
	v_sub_f32_e32 v22, v19, v13
	;; [unrolled: 1-line block ×3, first 2 shown]
	v_fmac_f32_e32 v21, 0x3f737871, v18
	v_fmac_f32_e32 v27, 0xbf167918, v12
	v_add_f32_e32 v22, v22, v31
	v_fmac_f32_e32 v21, 0x3f167918, v12
	v_fmac_f32_e32 v27, 0x3e9e377a, v22
	;; [unrolled: 1-line block ×3, first 2 shown]
	v_add_f32_e32 v22, v19, v33
	v_add_f32_e32 v17, v1, v19
	v_fmac_f32_e32 v1, -0.5, v22
	v_mov_b32_e32 v31, v1
	v_fmac_f32_e32 v31, 0x3f737871, v12
	v_fmac_f32_e32 v1, 0xbf737871, v12
	v_add_f32_e32 v12, v36, v38
	v_add_f32_e32 v12, v12, v8
	;; [unrolled: 1-line block ×7, first 2 shown]
	v_sub_f32_e32 v13, v13, v19
	v_sub_f32_e32 v19, v23, v33
	v_fma_f32 v70, -0.5, v12, v36
	v_fmac_f32_e32 v31, 0xbf167918, v18
	v_add_f32_e32 v13, v13, v19
	v_fmac_f32_e32 v1, 0x3f167918, v18
	v_sub_f32_e32 v12, v39, v41
	v_mov_b32_e32 v34, v70
	v_fmac_f32_e32 v31, 0x3e9e377a, v13
	v_fmac_f32_e32 v1, 0x3e9e377a, v13
	;; [unrolled: 1-line block ×3, first 2 shown]
	v_sub_f32_e32 v13, v9, v11
	v_sub_f32_e32 v18, v38, v8
	;; [unrolled: 1-line block ×3, first 2 shown]
	v_fmac_f32_e32 v70, 0xbf737871, v12
	v_fmac_f32_e32 v34, 0x3f167918, v13
	v_add_f32_e32 v18, v18, v19
	v_fmac_f32_e32 v70, 0xbf167918, v13
	v_fmac_f32_e32 v34, 0x3e9e377a, v18
	;; [unrolled: 1-line block ×3, first 2 shown]
	v_add_f32_e32 v18, v38, v40
	v_fmac_f32_e32 v36, -0.5, v18
	v_mov_b32_e32 v46, v36
	v_fmac_f32_e32 v46, 0xbf737871, v13
	v_fmac_f32_e32 v36, 0x3f737871, v13
	;; [unrolled: 1-line block ×4, first 2 shown]
	v_add_f32_e32 v12, v37, v39
	v_add_f32_e32 v12, v12, v9
	;; [unrolled: 1-line block ×7, first 2 shown]
	v_fma_f32 v71, -0.5, v12, v37
	v_sub_f32_e32 v12, v38, v40
	v_mov_b32_e32 v35, v71
	v_sub_f32_e32 v18, v8, v38
	v_sub_f32_e32 v19, v10, v40
	v_fmac_f32_e32 v35, 0xbf737871, v12
	v_sub_f32_e32 v8, v8, v10
	v_sub_f32_e32 v10, v39, v9
	;; [unrolled: 1-line block ×3, first 2 shown]
	v_fmac_f32_e32 v71, 0x3f737871, v12
	v_fmac_f32_e32 v35, 0xbf167918, v8
	v_add_f32_e32 v10, v10, v13
	v_fmac_f32_e32 v71, 0x3f167918, v8
	v_fmac_f32_e32 v35, 0x3e9e377a, v10
	v_fmac_f32_e32 v71, 0x3e9e377a, v10
	v_add_f32_e32 v10, v39, v41
	v_fmac_f32_e32 v37, -0.5, v10
	v_mov_b32_e32 v47, v37
	v_fmac_f32_e32 v47, 0x3f737871, v8
	v_fmac_f32_e32 v37, 0xbf737871, v8
	v_mul_lo_u16_e32 v8, 5, v165
	s_load_dwordx2 s[14:15], s[4:5], 0x8
	v_add_co_u32_e32 v75, vcc, 0x4b, v165
	v_lshl_add_u32 v125, v8, 3, v166
	s_waitcnt lgkmcnt(0)
	s_barrier
	ds_write2_b64 v125, v[42:43], v[48:49] offset1:1
	ds_write2_b64 v125, v[50:51], v[4:5] offset0:2 offset1:3
	ds_write_b64 v125, v[44:45] offset:32
	v_mul_u32_u24_e32 v4, 5, v75
	v_add_co_u32_e32 v74, vcc, 0x96, v165
	v_sub_f32_e32 v9, v9, v39
	v_sub_f32_e32 v10, v11, v41
	v_lshl_add_u32 v126, v4, 3, v166
	v_add_co_u32_e32 v76, vcc, 0xe1, v165
	v_add_f32_e32 v18, v18, v19
	v_fmac_f32_e32 v47, 0xbf167918, v12
	v_add_f32_e32 v9, v9, v10
	v_fmac_f32_e32 v37, 0x3f167918, v12
	ds_write2_b64 v126, v[2:3], v[24:25] offset1:1
	ds_write2_b64 v126, v[28:29], v[6:7] offset0:2 offset1:3
	ds_write_b64 v126, v[14:15] offset:32
	v_mul_u32_u24_e32 v2, 5, v74
	v_fmac_f32_e32 v46, 0x3e9e377a, v18
	v_fmac_f32_e32 v36, 0x3e9e377a, v18
	;; [unrolled: 1-line block ×4, first 2 shown]
	v_lshl_add_u32 v168, v2, 3, v166
	v_mul_u32_u24_e32 v169, 5, v76
	ds_write2_b64 v168, v[16:17], v[26:27] offset1:1
	ds_write2_b64 v168, v[30:31], v[0:1] offset0:2 offset1:3
	ds_write_b64 v168, v[20:21] offset:32
	s_and_saveexec_b64 s[4:5], s[0:1]
	s_cbranch_execz .LBB0_7
; %bb.6:
	v_lshl_add_u32 v2, v169, 3, v166
	v_mov_b32_e32 v0, v36
	v_mov_b32_e32 v1, v37
	ds_write2_b64 v2, v[32:33], v[34:35] offset1:1
	ds_write2_b64 v2, v[46:47], v[0:1] offset0:2 offset1:3
	ds_write_b64 v2, v[70:71] offset:32
.LBB0_7:
	s_or_b64 exec, exec, s[4:5]
	v_add_u32_e32 v0, 0xc00, v164
	s_waitcnt lgkmcnt(0)
	s_barrier
	ds_read2_b64 v[42:45], v164 offset1:75
	ds_read2_b64 v[38:41], v164 offset0:150 offset1:240
	ds_read2_b64 v[54:57], v0 offset0:96 offset1:171
	v_add_u32_e32 v0, 0x1000, v164
	ds_read2_b64 v[50:53], v0 offset0:118 offset1:208
	v_add_u32_e32 v0, 0x1c00, v164
	;; [unrolled: 2-line block ×4, first 2 shown]
	ds_read2_b64 v[66:69], v0 offset0:27 offset1:102
	ds_read_b64 v[72:73], v164 offset:8880
	s_and_saveexec_b64 s[4:5], s[0:1]
	s_cbranch_execz .LBB0_9
; %bb.8:
	v_add_u32_e32 v1, 0x1600, v164
	v_add_u32_e32 v0, 0x700, v164
	ds_read2_b64 v[46:49], v1 offset0:1 offset1:241
	ds_read_b64 v[70:71], v164 offset:9480
	ds_read2_b64 v[32:35], v0 offset0:1 offset1:241
	s_waitcnt lgkmcnt(2)
	v_mov_b32_e32 v36, v48
	v_mov_b32_e32 v37, v49
.LBB0_9:
	s_or_b64 exec, exec, s[4:5]
	s_movk_i32 s4, 0xcd
	v_mul_lo_u16_sdwa v0, v165, s4 dst_sel:DWORD dst_unused:UNUSED_PAD src0_sel:BYTE_0 src1_sel:DWORD
	v_lshrrev_b16_e32 v77, 10, v0
	v_mul_lo_u16_e32 v0, 5, v77
	v_sub_u16_e32 v78, v165, v0
	v_mov_b32_e32 v16, 5
	v_lshlrev_b32_sdwa v8, v16, v78 dst_sel:DWORD dst_unused:UNUSED_PAD src0_sel:DWORD src1_sel:BYTE_0
	global_load_dwordx4 v[4:7], v8, s[14:15]
	global_load_dwordx4 v[0:3], v8, s[14:15] offset:16
	v_mul_lo_u16_sdwa v8, v75, s4 dst_sel:DWORD dst_unused:UNUSED_PAD src0_sel:BYTE_0 src1_sel:DWORD
	v_lshrrev_b16_e32 v79, 10, v8
	v_mul_lo_u16_e32 v8, 5, v79
	v_sub_u16_e32 v80, v75, v8
	v_lshlrev_b32_sdwa v17, v16, v80 dst_sel:DWORD dst_unused:UNUSED_PAD src0_sel:DWORD src1_sel:BYTE_0
	global_load_dwordx4 v[12:15], v17, s[14:15]
	global_load_dwordx4 v[8:11], v17, s[14:15] offset:16
	v_mul_lo_u16_sdwa v17, v74, s4 dst_sel:DWORD dst_unused:UNUSED_PAD src0_sel:BYTE_0 src1_sel:DWORD
	v_lshrrev_b16_e32 v81, 10, v17
	v_mul_lo_u16_e32 v17, 5, v81
	v_sub_u16_e32 v82, v74, v17
	v_lshlrev_b32_sdwa v24, v16, v82 dst_sel:DWORD dst_unused:UNUSED_PAD src0_sel:DWORD src1_sel:BYTE_0
	s_mov_b32 s4, 0xcccd
	global_load_dwordx4 v[20:23], v24, s[14:15]
	global_load_dwordx4 v[16:19], v24, s[14:15] offset:16
	v_mul_u32_u24_sdwa v24, v76, s4 dst_sel:DWORD dst_unused:UNUSED_PAD src0_sel:WORD_0 src1_sel:DWORD
	v_lshrrev_b32_e32 v83, 18, v24
	v_mul_lo_u16_e32 v24, 5, v83
	v_sub_u16_e32 v84, v76, v24
	v_lshlrev_b16_e32 v24, 2, v84
	v_lshlrev_b32_e32 v48, 3, v24
	global_load_dwordx4 v[28:31], v48, s[14:15]
	global_load_dwordx4 v[24:27], v48, s[14:15] offset:16
	s_waitcnt vmcnt(0) lgkmcnt(0)
	s_barrier
	v_mad_legacy_u16 v170, v83, 25, v84
	v_mul_f32_e32 v48, v41, v5
	v_mul_f32_e32 v49, v55, v7
	;; [unrolled: 1-line block ×5, first 2 shown]
	v_fma_f32 v107, v40, v4, -v48
	v_mul_f32_e32 v91, v63, v13
	v_fma_f32 v108, v54, v6, -v49
	v_fmac_f32_e32 v86, v55, v6
	v_fma_f32 v55, v52, v0, -v87
	v_mul_f32_e32 v90, v58, v3
	v_fma_f32 v87, v62, v12, -v91
	v_mul_f32_e32 v88, v52, v1
	v_mul_f32_e32 v101, v51, v23
	;; [unrolled: 1-line block ×3, first 2 shown]
	v_fma_f32 v91, v50, v22, -v101
	v_mul_f32_e32 v89, v59, v3
	v_fmac_f32_e32 v85, v41, v4
	v_fmac_f32_e32 v90, v59, v2
	v_mul_f32_e32 v92, v62, v13
	v_mul_f32_e32 v40, v34, v29
	;; [unrolled: 1-line block ×5, first 2 shown]
	v_fmac_f32_e32 v40, v35, v28
	v_fma_f32 v35, v46, v30, -v49
	v_add_f32_e32 v49, v108, v55
	v_mul_f32_e32 v41, v46, v31
	v_fma_f32 v46, v36, v24, -v50
	v_fma_f32 v50, -0.5, v49, v42
	v_mul_f32_e32 v93, v57, v15
	v_fmac_f32_e32 v88, v53, v0
	v_fma_f32 v53, v58, v2, -v89
	v_sub_f32_e32 v49, v85, v90
	v_mov_b32_e32 v52, v50
	v_mul_f32_e32 v94, v56, v15
	v_fmac_f32_e32 v92, v63, v12
	v_fma_f32 v63, v56, v14, -v93
	v_fmac_f32_e32 v102, v51, v22
	v_fmac_f32_e32 v52, 0x3f737871, v49
	v_sub_f32_e32 v51, v86, v88
	v_sub_f32_e32 v54, v107, v108
	;; [unrolled: 1-line block ×3, first 2 shown]
	v_fmac_f32_e32 v50, 0xbf737871, v49
	v_fmac_f32_e32 v52, 0x3f167918, v51
	v_add_f32_e32 v54, v54, v56
	v_fmac_f32_e32 v50, 0xbf167918, v51
	v_fmac_f32_e32 v52, 0x3e9e377a, v54
	;; [unrolled: 1-line block ×3, first 2 shown]
	v_add_f32_e32 v54, v107, v53
	v_fma_f32 v34, v34, v28, -v48
	v_add_f32_e32 v48, v42, v107
	v_fma_f32 v42, -0.5, v54, v42
	v_mov_b32_e32 v54, v42
	v_fmac_f32_e32 v94, v57, v14
	v_add_f32_e32 v48, v48, v108
	v_fmac_f32_e32 v54, 0xbf737871, v51
	v_sub_f32_e32 v56, v108, v107
	v_sub_f32_e32 v57, v55, v53
	v_fmac_f32_e32 v42, 0x3f737871, v51
	v_add_f32_e32 v51, v86, v88
	v_add_f32_e32 v48, v48, v55
	v_fmac_f32_e32 v54, 0x3f167918, v49
	v_add_f32_e32 v56, v56, v57
	v_fmac_f32_e32 v42, 0xbf167918, v49
	v_fma_f32 v51, -0.5, v51, v43
	v_add_f32_e32 v48, v48, v53
	v_fmac_f32_e32 v54, 0x3e9e377a, v56
	v_fmac_f32_e32 v42, 0x3e9e377a, v56
	v_sub_f32_e32 v56, v107, v53
	v_mov_b32_e32 v53, v51
	v_fmac_f32_e32 v53, 0xbf737871, v56
	v_sub_f32_e32 v57, v108, v55
	v_sub_f32_e32 v55, v85, v86
	;; [unrolled: 1-line block ×3, first 2 shown]
	v_fmac_f32_e32 v51, 0x3f737871, v56
	v_fmac_f32_e32 v53, 0xbf167918, v57
	v_add_f32_e32 v55, v55, v58
	v_fmac_f32_e32 v51, 0x3f167918, v57
	v_fmac_f32_e32 v53, 0x3e9e377a, v55
	v_fmac_f32_e32 v51, 0x3e9e377a, v55
	v_add_f32_e32 v55, v85, v90
	v_add_f32_e32 v49, v43, v85
	v_fma_f32 v43, -0.5, v55, v43
	v_mul_f32_e32 v95, v67, v9
	v_mov_b32_e32 v55, v43
	v_mul_f32_e32 v96, v66, v9
	v_fma_f32 v66, v66, v8, -v95
	v_fmac_f32_e32 v55, 0x3f737871, v57
	v_sub_f32_e32 v58, v86, v85
	v_sub_f32_e32 v59, v88, v90
	v_fmac_f32_e32 v43, 0xbf737871, v57
	v_mul_f32_e32 v98, v60, v11
	v_fmac_f32_e32 v55, 0xbf167918, v56
	v_add_f32_e32 v58, v58, v59
	v_fmac_f32_e32 v43, 0x3f167918, v56
	v_add_f32_e32 v57, v63, v66
	v_mul_f32_e32 v97, v61, v11
	v_fmac_f32_e32 v98, v61, v10
	v_fmac_f32_e32 v55, 0x3e9e377a, v58
	;; [unrolled: 1-line block ×3, first 2 shown]
	v_fma_f32 v58, -0.5, v57, v44
	v_fmac_f32_e32 v96, v67, v8
	v_fma_f32 v67, v60, v10, -v97
	v_sub_f32_e32 v57, v92, v98
	v_mov_b32_e32 v60, v58
	v_fmac_f32_e32 v60, 0x3f737871, v57
	v_sub_f32_e32 v59, v94, v96
	v_sub_f32_e32 v61, v87, v63
	;; [unrolled: 1-line block ×3, first 2 shown]
	v_fmac_f32_e32 v58, 0xbf737871, v57
	v_fmac_f32_e32 v60, 0x3f167918, v59
	v_add_f32_e32 v61, v61, v62
	v_fmac_f32_e32 v58, 0xbf167918, v59
	v_fmac_f32_e32 v60, 0x3e9e377a, v61
	;; [unrolled: 1-line block ×3, first 2 shown]
	v_add_f32_e32 v61, v87, v67
	v_add_f32_e32 v56, v44, v87
	v_fma_f32 v44, -0.5, v61, v44
	v_mul_f32_e32 v99, v65, v21
	v_mov_b32_e32 v62, v44
	v_mul_f32_e32 v100, v64, v21
	v_fma_f32 v89, v64, v20, -v99
	v_fmac_f32_e32 v62, 0xbf737871, v59
	v_sub_f32_e32 v61, v63, v87
	v_sub_f32_e32 v64, v66, v67
	v_fmac_f32_e32 v44, 0x3f737871, v59
	v_add_f32_e32 v59, v94, v96
	v_fmac_f32_e32 v62, 0x3f167918, v57
	v_add_f32_e32 v61, v61, v64
	v_fmac_f32_e32 v44, 0xbf167918, v57
	v_fma_f32 v59, -0.5, v59, v45
	v_add_f32_e32 v56, v56, v63
	v_fmac_f32_e32 v62, 0x3e9e377a, v61
	v_fmac_f32_e32 v44, 0x3e9e377a, v61
	v_sub_f32_e32 v64, v87, v67
	v_mov_b32_e32 v61, v59
	v_fmac_f32_e32 v100, v65, v20
	v_add_f32_e32 v56, v56, v66
	v_fmac_f32_e32 v61, 0xbf737871, v64
	v_sub_f32_e32 v65, v63, v66
	v_sub_f32_e32 v63, v92, v94
	;; [unrolled: 1-line block ×3, first 2 shown]
	v_fmac_f32_e32 v59, 0x3f737871, v64
	v_fmac_f32_e32 v61, 0xbf167918, v65
	v_add_f32_e32 v63, v63, v66
	v_fmac_f32_e32 v59, 0x3f167918, v65
	v_fmac_f32_e32 v61, 0x3e9e377a, v63
	;; [unrolled: 1-line block ×3, first 2 shown]
	v_add_f32_e32 v63, v92, v98
	v_add_f32_e32 v57, v45, v92
	v_fmac_f32_e32 v45, -0.5, v63
	v_mul_f32_e32 v103, v69, v17
	v_mov_b32_e32 v63, v45
	v_fma_f32 v93, v68, v16, -v103
	v_add_f32_e32 v56, v56, v67
	v_fmac_f32_e32 v63, 0x3f737871, v65
	v_sub_f32_e32 v66, v94, v92
	v_sub_f32_e32 v67, v96, v98
	v_fmac_f32_e32 v45, 0xbf737871, v65
	v_mul_f32_e32 v106, v72, v19
	v_fmac_f32_e32 v63, 0xbf167918, v64
	v_add_f32_e32 v66, v66, v67
	v_fmac_f32_e32 v45, 0x3f167918, v64
	v_add_f32_e32 v65, v91, v93
	v_mul_f32_e32 v104, v68, v17
	v_mul_f32_e32 v105, v73, v19
	v_fmac_f32_e32 v106, v73, v18
	v_fmac_f32_e32 v41, v47, v30
	v_mul_f32_e32 v47, v36, v25
	v_fmac_f32_e32 v63, 0x3e9e377a, v66
	v_fmac_f32_e32 v45, 0x3e9e377a, v66
	v_fma_f32 v66, -0.5, v65, v38
	v_fmac_f32_e32 v104, v69, v16
	v_fma_f32 v69, v72, v18, -v105
	v_fmac_f32_e32 v47, v37, v24
	v_mul_f32_e32 v36, v71, v27
	v_mul_f32_e32 v37, v70, v27
	v_sub_f32_e32 v65, v100, v106
	v_mov_b32_e32 v68, v66
	v_fma_f32 v36, v70, v26, -v36
	v_fmac_f32_e32 v37, v71, v26
	v_fmac_f32_e32 v68, 0x3f737871, v65
	v_sub_f32_e32 v67, v102, v104
	v_sub_f32_e32 v70, v89, v91
	;; [unrolled: 1-line block ×3, first 2 shown]
	v_fmac_f32_e32 v66, 0xbf737871, v65
	v_fmac_f32_e32 v68, 0x3f167918, v67
	v_add_f32_e32 v70, v70, v71
	v_fmac_f32_e32 v66, 0xbf167918, v67
	v_fmac_f32_e32 v68, 0x3e9e377a, v70
	;; [unrolled: 1-line block ×3, first 2 shown]
	v_add_f32_e32 v70, v89, v69
	v_add_f32_e32 v64, v38, v89
	v_fma_f32 v38, -0.5, v70, v38
	v_mov_b32_e32 v70, v38
	v_add_f32_e32 v64, v64, v91
	v_fmac_f32_e32 v70, 0xbf737871, v67
	v_fmac_f32_e32 v38, 0x3f737871, v67
	v_add_f32_e32 v67, v102, v104
	v_add_f32_e32 v64, v64, v93
	v_sub_f32_e32 v71, v91, v89
	v_sub_f32_e32 v72, v93, v69
	v_fma_f32 v67, -0.5, v67, v39
	v_add_f32_e32 v64, v64, v69
	v_fmac_f32_e32 v70, 0x3f167918, v65
	v_add_f32_e32 v71, v71, v72
	v_fmac_f32_e32 v38, 0xbf167918, v65
	v_sub_f32_e32 v72, v89, v69
	v_mov_b32_e32 v69, v67
	v_fmac_f32_e32 v70, 0x3e9e377a, v71
	v_fmac_f32_e32 v38, 0x3e9e377a, v71
	;; [unrolled: 1-line block ×3, first 2 shown]
	v_sub_f32_e32 v73, v91, v93
	v_sub_f32_e32 v71, v100, v102
	;; [unrolled: 1-line block ×3, first 2 shown]
	v_fmac_f32_e32 v67, 0x3f737871, v72
	v_fmac_f32_e32 v69, 0xbf167918, v73
	v_add_f32_e32 v71, v71, v85
	v_fmac_f32_e32 v67, 0x3f167918, v73
	v_fmac_f32_e32 v69, 0x3e9e377a, v71
	;; [unrolled: 1-line block ×3, first 2 shown]
	v_add_f32_e32 v71, v100, v106
	v_add_f32_e32 v65, v39, v100
	v_fmac_f32_e32 v39, -0.5, v71
	v_mov_b32_e32 v71, v39
	v_fmac_f32_e32 v71, 0x3f737871, v73
	v_fmac_f32_e32 v39, 0xbf737871, v73
	;; [unrolled: 1-line block ×4, first 2 shown]
	v_add_f32_e32 v72, v35, v46
	v_add_f32_e32 v49, v49, v86
	v_sub_f32_e32 v85, v102, v100
	v_sub_f32_e32 v86, v104, v106
	v_fma_f32 v123, -0.5, v72, v32
	v_add_f32_e32 v85, v85, v86
	v_sub_f32_e32 v72, v40, v37
	v_mov_b32_e32 v116, v123
	v_fmac_f32_e32 v71, 0x3e9e377a, v85
	v_fmac_f32_e32 v39, 0x3e9e377a, v85
	v_fmac_f32_e32 v116, 0x3f737871, v72
	v_sub_f32_e32 v73, v41, v47
	v_sub_f32_e32 v85, v34, v35
	;; [unrolled: 1-line block ×3, first 2 shown]
	v_fmac_f32_e32 v123, 0xbf737871, v72
	v_fmac_f32_e32 v116, 0x3f167918, v73
	v_add_f32_e32 v85, v85, v86
	v_fmac_f32_e32 v123, 0xbf167918, v73
	v_fmac_f32_e32 v116, 0x3e9e377a, v85
	;; [unrolled: 1-line block ×3, first 2 shown]
	v_add_f32_e32 v85, v34, v36
	v_fma_f32 v86, -0.5, v85, v32
	v_mov_b32_e32 v118, v86
	v_fmac_f32_e32 v118, 0xbf737871, v73
	v_fmac_f32_e32 v86, 0x3f737871, v73
	;; [unrolled: 1-line block ×4, first 2 shown]
	v_add_f32_e32 v72, v41, v47
	v_sub_f32_e32 v85, v35, v34
	v_sub_f32_e32 v87, v46, v36
	v_fma_f32 v124, -0.5, v72, v33
	v_add_f32_e32 v85, v85, v87
	v_sub_f32_e32 v72, v34, v36
	v_mov_b32_e32 v117, v124
	v_fmac_f32_e32 v118, 0x3e9e377a, v85
	v_fmac_f32_e32 v86, 0x3e9e377a, v85
	v_fmac_f32_e32 v117, 0xbf737871, v72
	v_sub_f32_e32 v73, v35, v46
	v_sub_f32_e32 v85, v40, v41
	;; [unrolled: 1-line block ×3, first 2 shown]
	v_fmac_f32_e32 v124, 0x3f737871, v72
	v_fmac_f32_e32 v117, 0xbf167918, v73
	v_add_f32_e32 v85, v85, v87
	v_fmac_f32_e32 v124, 0x3f167918, v73
	v_fmac_f32_e32 v117, 0x3e9e377a, v85
	;; [unrolled: 1-line block ×3, first 2 shown]
	v_add_f32_e32 v85, v40, v37
	v_fma_f32 v87, -0.5, v85, v33
	v_mov_b32_e32 v119, v87
	v_fmac_f32_e32 v119, 0x3f737871, v73
	v_fmac_f32_e32 v87, 0xbf737871, v73
	;; [unrolled: 1-line block ×4, first 2 shown]
	v_mul_u32_u24_e32 v72, 25, v77
	v_add_f32_e32 v49, v49, v88
	v_add_u32_sdwa v72, v72, v78 dst_sel:DWORD dst_unused:UNUSED_PAD src0_sel:DWORD src1_sel:BYTE_0
	v_add_f32_e32 v49, v49, v90
	v_lshl_add_u32 v171, v72, 3, v166
	ds_write2_b64 v171, v[48:49], v[52:53] offset1:5
	ds_write2_b64 v171, v[54:55], v[42:43] offset0:10 offset1:15
	ds_write_b64 v171, v[50:51] offset:160
	v_mul_u32_u24_e32 v42, 25, v79
	v_add_u32_sdwa v42, v42, v80 dst_sel:DWORD dst_unused:UNUSED_PAD src0_sel:DWORD src1_sel:BYTE_0
	v_add_f32_e32 v57, v57, v94
	v_add_f32_e32 v65, v65, v102
	v_sub_f32_e32 v85, v41, v40
	v_sub_f32_e32 v88, v47, v37
	v_lshl_add_u32 v172, v42, 3, v166
	v_mul_u32_u24_e32 v42, 25, v81
	v_add_f32_e32 v57, v57, v96
	v_add_f32_e32 v65, v65, v104
	;; [unrolled: 1-line block ×3, first 2 shown]
	v_add_u32_sdwa v42, v42, v82 dst_sel:DWORD dst_unused:UNUSED_PAD src0_sel:DWORD src1_sel:BYTE_0
	v_add_f32_e32 v57, v57, v98
	v_add_f32_e32 v65, v65, v106
	v_fmac_f32_e32 v119, 0x3e9e377a, v85
	v_fmac_f32_e32 v87, 0x3e9e377a, v85
	v_lshl_add_u32 v173, v42, 3, v166
	ds_write2_b64 v172, v[56:57], v[60:61] offset1:5
	ds_write2_b64 v172, v[62:63], v[44:45] offset0:10 offset1:15
	ds_write_b64 v172, v[58:59] offset:160
	ds_write2_b64 v173, v[64:65], v[68:69] offset1:5
	ds_write2_b64 v173, v[70:71], v[38:39] offset0:10 offset1:15
	ds_write_b64 v173, v[66:67] offset:160
	s_and_saveexec_b64 s[4:5], s[0:1]
	s_cbranch_execz .LBB0_11
; %bb.10:
	v_add_f32_e32 v33, v33, v40
	v_add_f32_e32 v32, v32, v34
	;; [unrolled: 1-line block ×8, first 2 shown]
	v_lshl_add_u32 v34, v170, 3, v166
	ds_write2_b64 v34, v[32:33], v[116:117] offset1:5
	ds_write2_b64 v34, v[118:119], v[86:87] offset0:10 offset1:15
	ds_write_b64 v34, v[123:124] offset:160
.LBB0_11:
	s_or_b64 exec, exec, s[4:5]
	v_mov_b32_e32 v32, 41
	v_mul_lo_u16_sdwa v32, v165, v32 dst_sel:DWORD dst_unused:UNUSED_PAD src0_sel:BYTE_0 src1_sel:DWORD
	v_lshrrev_b16_e32 v100, 10, v32
	v_mul_lo_u16_e32 v32, 25, v100
	v_sub_u16_e32 v32, v165, v32
	v_and_b32_e32 v101, 0xff, v32
	v_mov_b32_e32 v33, s15
	s_movk_i32 s4, 0x78
	v_mov_b32_e32 v32, s14
	v_mad_u64_u32 v[32:33], s[4:5], v101, s4, v[32:33]
	s_waitcnt lgkmcnt(0)
	s_barrier
	global_load_dwordx4 v[56:59], v[32:33], off offset:160
	global_load_dwordx4 v[48:51], v[32:33], off offset:176
	;; [unrolled: 1-line block ×7, first 2 shown]
	global_load_dwordx2 v[160:161], v[32:33], off offset:272
	v_add_u32_e32 v104, 0x800, v164
	ds_read2_b64 v[32:35], v164 offset1:75
	ds_read2_b64 v[64:67], v164 offset0:150 offset1:225
	v_add_u32_e32 v108, 0xc00, v164
	v_add_u32_e32 v120, 0x1000, v164
	;; [unrolled: 1-line block ×5, first 2 shown]
	ds_read2_b64 v[68:71], v104 offset0:44 offset1:119
	ds_read2_b64 v[77:80], v108 offset0:66 offset1:141
	;; [unrolled: 1-line block ×6, first 2 shown]
	s_waitcnt vmcnt(0) lgkmcnt(0)
	s_barrier
	v_cmp_gt_u16_e64 s[4:5], 25, v165
	v_mul_f32_e32 v73, v34, v57
	v_mul_f32_e32 v109, v68, v51
	;; [unrolled: 1-line block ×22, first 2 shown]
	v_fmac_f32_e32 v109, v69, v50
	v_fma_f32 v69, v81, v38, -v121
	v_fmac_f32_e32 v178, v93, v54
	v_mul_f32_e32 v81, v98, v161
	v_mul_f32_e32 v72, v35, v57
	;; [unrolled: 1-line block ×6, first 2 shown]
	v_fmac_f32_e32 v73, v35, v56
	v_fma_f32 v35, v64, v58, -v85
	v_fmac_f32_e32 v102, v65, v58
	v_fma_f32 v64, v66, v48, -v103
	;; [unrolled: 2-line block ×3, first 2 shown]
	v_fma_f32 v66, v70, v40, -v110
	v_fmac_f32_e32 v111, v71, v40
	v_fma_f32 v67, v77, v42, -v112
	v_fmac_f32_e32 v113, v78, v42
	v_fmac_f32_e32 v115, v80, v36
	v_fmac_f32_e32 v122, v82, v38
	v_fma_f32 v70, v83, v60, -v162
	v_fmac_f32_e32 v163, v84, v60
	v_fma_f32 v71, v88, v62, -v167
	v_fmac_f32_e32 v176, v91, v52
	v_fma_f32 v77, v92, v54, -v177
	v_fmac_f32_e32 v180, v95, v44
	v_fmac_f32_e32 v182, v97, v46
	v_fmac_f32_e32 v81, v99, v160
	v_sub_f32_e32 v69, v32, v69
	v_sub_f32_e32 v83, v109, v178
	v_mul_f32_e32 v175, v91, v53
	v_fma_f32 v34, v34, v56, -v72
	v_fma_f32 v68, v79, v36, -v114
	v_fmac_f32_e32 v174, v89, v62
	v_fma_f32 v78, v94, v44, -v179
	v_fma_f32 v79, v96, v46, -v181
	v_sub_f32_e32 v82, v33, v122
	v_sub_f32_e32 v77, v65, v77
	v_fma_f32 v84, v109, 2.0, -v83
	v_sub_f32_e32 v71, v35, v71
	v_sub_f32_e32 v89, v113, v182
	;; [unrolled: 1-line block ×7, first 2 shown]
	v_mul_f32_e32 v183, v99, v161
	v_fma_f32 v72, v90, v52, -v175
	v_fma_f32 v32, v32, 2.0, -v69
	v_fma_f32 v65, v65, 2.0, -v77
	v_sub_f32_e32 v85, v102, v174
	v_sub_f32_e32 v79, v67, v79
	v_fma_f32 v90, v113, 2.0, -v89
	v_sub_f32_e32 v70, v34, v70
	v_fma_f32 v73, v73, 2.0, -v91
	v_fma_f32 v93, v111, 2.0, -v92
	;; [unrolled: 1-line block ×4, first 2 shown]
	v_add_f32_e32 v77, v82, v77
	v_fma_f32 v69, v69, 2.0, -v83
	v_sub_f32_e32 v89, v71, v89
	v_fma_f32 v80, v98, v160, -v183
	v_fma_f32 v33, v33, 2.0, -v82
	v_fma_f32 v35, v35, 2.0, -v71
	;; [unrolled: 1-line block ×4, first 2 shown]
	v_sub_f32_e32 v78, v66, v78
	v_sub_f32_e32 v72, v64, v72
	v_fma_f32 v82, v82, 2.0, -v77
	v_add_f32_e32 v79, v85, v79
	v_fma_f32 v71, v71, 2.0, -v89
	v_sub_f32_e32 v93, v73, v93
	v_sub_f32_e32 v92, v70, v92
	v_sub_f32_e32 v96, v95, v96
	v_mov_b32_e32 v99, v69
	v_fma_f32 v34, v34, 2.0, -v70
	v_fma_f32 v66, v66, 2.0, -v78
	v_sub_f32_e32 v80, v68, v80
	v_sub_f32_e32 v65, v32, v65
	;; [unrolled: 1-line block ×3, first 2 shown]
	v_fma_f32 v85, v85, 2.0, -v79
	v_fma_f32 v73, v73, 2.0, -v93
	v_add_f32_e32 v78, v91, v78
	v_fma_f32 v70, v70, 2.0, -v92
	v_fma_f32 v95, v95, 2.0, -v96
	v_sub_f32_e32 v81, v72, v81
	v_fmac_f32_e32 v99, 0xbf3504f3, v71
	v_mov_b32_e32 v102, v82
	v_fma_f32 v64, v64, 2.0, -v72
	v_fma_f32 v68, v68, 2.0, -v80
	;; [unrolled: 1-line block ×4, first 2 shown]
	v_add_f32_e32 v80, v94, v80
	v_fma_f32 v72, v72, 2.0, -v81
	v_fmac_f32_e32 v102, 0xbf3504f3, v85
	v_fmac_f32_e32 v99, 0xbf3504f3, v85
	v_sub_f32_e32 v85, v65, v90
	v_sub_f32_e32 v90, v73, v95
	v_mov_b32_e32 v95, v70
	v_sub_f32_e32 v66, v34, v66
	v_sub_f32_e32 v68, v64, v68
	v_fma_f32 v94, v94, 2.0, -v80
	v_mov_b32_e32 v107, v77
	v_fmac_f32_e32 v95, 0xbf3504f3, v72
	v_mov_b32_e32 v109, v91
	v_sub_f32_e32 v84, v33, v84
	v_sub_f32_e32 v67, v35, v67
	v_fma_f32 v34, v34, 2.0, -v66
	v_fma_f32 v64, v64, 2.0, -v68
	;; [unrolled: 1-line block ×3, first 2 shown]
	v_mov_b32_e32 v106, v83
	v_fmac_f32_e32 v107, 0x3f3504f3, v79
	v_fmac_f32_e32 v109, 0xbf3504f3, v94
	;; [unrolled: 1-line block ×3, first 2 shown]
	v_fma_f32 v35, v35, 2.0, -v67
	v_fmac_f32_e32 v102, 0x3f3504f3, v71
	v_add_f32_e32 v103, v84, v67
	v_fmac_f32_e32 v106, 0x3f3504f3, v89
	v_fmac_f32_e32 v107, 0x3f3504f3, v89
	v_sub_f32_e32 v89, v34, v64
	v_fmac_f32_e32 v109, 0x3f3504f3, v72
	v_fma_f32 v67, v70, 2.0, -v95
	v_mov_b32_e32 v64, v69
	v_fma_f32 v33, v33, 2.0, -v84
	v_fma_f32 v71, v82, 2.0, -v102
	v_fma_f32 v82, v65, 2.0, -v85
	v_fma_f32 v70, v91, 2.0, -v109
	v_sub_f32_e32 v94, v66, v96
	v_mov_b32_e32 v110, v92
	v_mov_b32_e32 v111, v78
	v_fmac_f32_e32 v64, 0xbf6c835e, v67
	v_sub_f32_e32 v88, v33, v88
	v_fma_f32 v84, v84, 2.0, -v103
	v_fmac_f32_e32 v106, 0xbf3504f3, v79
	v_add_f32_e32 v96, v93, v68
	v_fma_f32 v72, v66, 2.0, -v94
	v_fmac_f32_e32 v110, 0x3f3504f3, v81
	v_fmac_f32_e32 v111, 0x3f3504f3, v80
	;; [unrolled: 1-line block ×3, first 2 shown]
	v_mov_b32_e32 v68, v82
	v_fma_f32 v98, v33, 2.0, -v88
	v_fma_f32 v79, v83, 2.0, -v106
	;; [unrolled: 1-line block ×5, first 2 shown]
	v_fmac_f32_e32 v110, 0xbf3504f3, v80
	v_fmac_f32_e32 v111, 0x3f3504f3, v81
	v_fma_f32 v66, v69, 2.0, -v64
	v_fmac_f32_e32 v68, 0xbf3504f3, v72
	v_mov_b32_e32 v69, v84
	v_fma_f32 v32, v32, 2.0, -v65
	v_fma_f32 v77, v92, 2.0, -v110
	;; [unrolled: 1-line block ×3, first 2 shown]
	v_mov_b32_e32 v65, v71
	v_fmac_f32_e32 v69, 0xbf3504f3, v73
	v_fmac_f32_e32 v68, 0xbf3504f3, v73
	v_mov_b32_e32 v73, v83
	v_mov_b32_e32 v92, v85
	v_fmac_f32_e32 v65, 0xbf6c835e, v70
	v_fmac_f32_e32 v69, 0x3f3504f3, v72
	v_mov_b32_e32 v72, v79
	v_fmac_f32_e32 v73, 0xbec3ef15, v78
	v_fmac_f32_e32 v92, 0x3f3504f3, v94
	v_mov_b32_e32 v93, v103
	v_sub_f32_e32 v97, v32, v35
	v_fmac_f32_e32 v65, 0x3ec3ef15, v67
	v_fmac_f32_e32 v72, 0xbec3ef15, v77
	;; [unrolled: 1-line block ×3, first 2 shown]
	v_add_f32_e32 v80, v88, v89
	v_fmac_f32_e32 v93, 0x3f3504f3, v96
	v_fmac_f32_e32 v92, 0xbf3504f3, v96
	v_fma_f32 v35, v32, 2.0, -v97
	v_fma_f32 v32, v34, 2.0, -v89
	;; [unrolled: 1-line block ×5, first 2 shown]
	v_fmac_f32_e32 v72, 0xbf6c835e, v78
	v_fma_f32 v78, v83, 2.0, -v73
	v_fma_f32 v82, v88, 2.0, -v80
	v_mov_b32_e32 v88, v99
	v_mov_b32_e32 v89, v102
	v_fmac_f32_e32 v93, 0x3f3504f3, v94
	v_fma_f32 v94, v85, 2.0, -v92
	v_mov_b32_e32 v84, v106
	v_mov_b32_e32 v85, v107
	v_mul_u32_u24_e32 v83, 0x190, v100
	v_sub_f32_e32 v32, v35, v32
	v_sub_f32_e32 v33, v98, v33
	v_fmac_f32_e32 v88, 0x3ec3ef15, v95
	v_fmac_f32_e32 v89, 0x3ec3ef15, v109
	v_fmac_f32_e32 v84, 0x3f6c835e, v110
	v_fmac_f32_e32 v85, 0x3f6c835e, v111
	v_add_u32_e32 v83, v83, v101
	v_fma_f32 v34, v35, 2.0, -v32
	v_fma_f32 v35, v98, 2.0, -v33
	;; [unrolled: 1-line block ×3, first 2 shown]
	v_sub_f32_e32 v79, v97, v90
	v_fmac_f32_e32 v88, 0xbf6c835e, v109
	v_fmac_f32_e32 v89, 0x3f6c835e, v95
	;; [unrolled: 1-line block ×4, first 2 shown]
	v_lshl_add_u32 v174, v83, 3, v166
	v_fma_f32 v81, v97, 2.0, -v79
	v_fma_f32 v90, v99, 2.0, -v88
	;; [unrolled: 1-line block ×6, first 2 shown]
	ds_write2_b64 v174, v[34:35], v[66:67] offset1:25
	ds_write2_b64 v174, v[70:71], v[77:78] offset0:50 offset1:75
	ds_write2_b64 v174, v[81:82], v[90:91] offset0:100 offset1:125
	;; [unrolled: 1-line block ×4, first 2 shown]
	v_add_u32_e32 v32, 0x400, v174
	ds_write2_b64 v32, v[68:69], v[72:73] offset0:122 offset1:147
	v_add_u32_e32 v32, 0x800, v174
	ds_write2_b64 v32, v[79:80], v[88:89] offset0:44 offset1:69
	ds_write2_b64 v32, v[92:93], v[84:85] offset0:94 offset1:119
	s_waitcnt lgkmcnt(0)
	s_barrier
	ds_read2_b64 v[100:103], v164 offset1:75
	ds_read2_b64 v[92:95], v104 offset0:44 offset1:144
	ds_read2_b64 v[104:107], v105 offset0:32 offset1:107
	;; [unrolled: 1-line block ×4, first 2 shown]
	v_add_u32_e32 v32, 0x1c00, v164
	ds_read2_b64 v[112:115], v32 offset0:54 offset1:129
	ds_read2_b64 v[88:91], v120 offset0:113 offset1:188
	ds_read_b64 v[120:121], v164 offset:8800
	s_and_saveexec_b64 s[16:17], s[4:5]
	s_cbranch_execz .LBB0_13
; %bb.12:
	ds_read_b64 v[84:85], v164 offset:3000
	ds_read_b64 v[116:117], v164 offset:6200
	;; [unrolled: 1-line block ×3, first 2 shown]
.LBB0_13:
	s_or_b64 exec, exec, s[16:17]
	v_lshlrev_b32_e32 v32, 4, v165
	v_lshlrev_b32_e32 v33, 4, v75
	global_load_dwordx4 v[64:67], v32, s[14:15] offset:3160
	global_load_dwordx4 v[68:71], v33, s[14:15] offset:3160
	v_lshlrev_b32_e32 v33, 4, v74
	v_add_u32_e32 v32, 0x12c0, v32
	global_load_dwordx4 v[72:75], v33, s[14:15] offset:3160
	global_load_dwordx4 v[80:83], v32, s[14:15] offset:3160
	v_lshlrev_b32_e32 v33, 4, v76
	v_add_co_u32_e32 v32, vcc, 0x177, v165
	s_movk_i32 s12, 0xffe7
	global_load_dwordx4 v[76:79], v33, s[14:15] offset:3160
	v_addc_co_u32_e64 v33, s[16:17], 0, 0, vcc
	v_add_co_u32_e32 v35, vcc, s12, v165
	v_addc_co_u32_e64 v122, s[16:17], 0, -1, vcc
	v_cndmask_b32_e64 v33, v122, v33, s[4:5]
	v_cndmask_b32_e64 v32, v35, v32, s[4:5]
	v_lshlrev_b64 v[32:33], 4, v[32:33]
	v_mov_b32_e32 v34, s15
	v_add_co_u32_e32 v32, vcc, s14, v32
	v_addc_co_u32_e32 v33, vcc, v34, v33, vcc
	global_load_dwordx4 v[32:35], v[32:33], off offset:3160
	s_waitcnt vmcnt(5) lgkmcnt(6)
	v_mul_f32_e32 v122, v95, v65
	v_mul_f32_e32 v162, v94, v65
	s_waitcnt lgkmcnt(5)
	v_mul_f32_e32 v163, v105, v67
	s_waitcnt vmcnt(4) lgkmcnt(4)
	v_mul_f32_e32 v176, v108, v69
	v_mul_f32_e32 v177, v107, v71
	s_waitcnt vmcnt(3)
	v_mul_f32_e32 v179, v111, v73
	s_waitcnt lgkmcnt(2)
	v_mul_f32_e32 v181, v113, v75
	v_mul_f32_e32 v167, v104, v67
	;; [unrolled: 1-line block ×3, first 2 shown]
	v_fma_f32 v122, v94, v64, -v122
	v_fmac_f32_e32 v162, v95, v64
	v_fma_f32 v163, v104, v66, -v163
	v_fmac_f32_e32 v176, v109, v68
	v_fma_f32 v109, v106, v70, -v177
	v_fma_f32 v177, v110, v72, -v179
	;; [unrolled: 1-line block ×3, first 2 shown]
	s_waitcnt vmcnt(2) lgkmcnt(1)
	v_mul_f32_e32 v181, v90, v81
	s_waitcnt lgkmcnt(0)
	v_mul_f32_e32 v95, v121, v83
	v_fmac_f32_e32 v167, v105, v66
	v_mul_f32_e32 v94, v91, v81
	v_fmac_f32_e32 v181, v91, v80
	v_fma_f32 v91, v120, v82, -v95
	v_add_f32_e32 v95, v122, v163
	v_mul_f32_e32 v178, v106, v71
	v_fma_f32 v90, v90, v80, -v94
	v_add_f32_e32 v94, v100, v122
	v_add_f32_e32 v104, v101, v162
	;; [unrolled: 1-line block ×3, first 2 shown]
	v_fma_f32 v100, -0.5, v95, v100
	s_waitcnt vmcnt(1)
	v_mul_f32_e32 v184, v88, v77
	v_mul_f32_e32 v185, v115, v79
	v_fma_f32 v175, v108, v68, -v175
	v_fmac_f32_e32 v178, v107, v70
	v_sub_f32_e32 v105, v162, v167
	v_add_f32_e32 v95, v104, v167
	v_mov_b32_e32 v104, v100
	s_waitcnt vmcnt(0)
	v_mul_f32_e32 v107, v117, v33
	v_fma_f32 v101, -0.5, v106, v101
	v_mul_f32_e32 v183, v89, v77
	v_fmac_f32_e32 v184, v89, v76
	v_fma_f32 v89, v114, v78, -v185
	v_fmac_f32_e32 v100, 0xbf5db3d7, v105
	v_fmac_f32_e32 v104, 0x3f5db3d7, v105
	v_fma_f32 v185, v116, v32, -v107
	v_sub_f32_e32 v106, v122, v163
	v_mov_b32_e32 v105, v101
	v_add_f32_e32 v107, v175, v109
	v_mul_f32_e32 v108, v119, v35
	v_fmac_f32_e32 v105, 0xbf5db3d7, v106
	v_fmac_f32_e32 v101, 0x3f5db3d7, v106
	v_add_f32_e32 v106, v102, v175
	v_fma_f32 v102, -0.5, v107, v102
	v_mul_f32_e32 v180, v110, v73
	v_fma_f32 v187, v118, v34, -v108
	v_sub_f32_e32 v107, v176, v178
	v_mov_b32_e32 v108, v102
	v_add_f32_e32 v110, v176, v178
	v_fmac_f32_e32 v108, 0x3f5db3d7, v107
	v_fmac_f32_e32 v102, 0xbf5db3d7, v107
	v_add_f32_e32 v107, v103, v176
	v_fmac_f32_e32 v103, -0.5, v110
	v_mul_f32_e32 v182, v112, v75
	v_fmac_f32_e32 v180, v111, v72
	v_add_f32_e32 v106, v106, v109
	v_sub_f32_e32 v110, v175, v109
	v_mov_b32_e32 v109, v103
	v_add_f32_e32 v111, v177, v179
	v_fmac_f32_e32 v182, v113, v74
	v_fmac_f32_e32 v109, 0xbf5db3d7, v110
	;; [unrolled: 1-line block ×3, first 2 shown]
	v_add_f32_e32 v110, v96, v177
	v_fma_f32 v96, -0.5, v111, v96
	v_sub_f32_e32 v111, v180, v182
	v_mov_b32_e32 v112, v96
	v_add_f32_e32 v113, v180, v182
	v_mul_f32_e32 v186, v114, v79
	v_fma_f32 v88, v88, v76, -v183
	v_fmac_f32_e32 v112, 0x3f5db3d7, v111
	v_fmac_f32_e32 v96, 0xbf5db3d7, v111
	v_add_f32_e32 v111, v97, v180
	v_fma_f32 v97, -0.5, v113, v97
	v_fmac_f32_e32 v186, v115, v78
	v_sub_f32_e32 v114, v177, v179
	v_mov_b32_e32 v113, v97
	v_add_f32_e32 v115, v88, v89
	v_mul_f32_e32 v162, v116, v33
	v_fmac_f32_e32 v113, 0xbf5db3d7, v114
	v_fmac_f32_e32 v97, 0x3f5db3d7, v114
	v_add_f32_e32 v114, v98, v88
	v_fma_f32 v98, -0.5, v115, v98
	v_fmac_f32_e32 v162, v117, v32
	v_sub_f32_e32 v115, v184, v186
	v_mov_b32_e32 v116, v98
	v_add_f32_e32 v117, v184, v186
	v_fmac_f32_e32 v116, 0x3f5db3d7, v115
	v_fmac_f32_e32 v98, 0xbf5db3d7, v115
	v_add_f32_e32 v115, v99, v184
	v_fmac_f32_e32 v99, -0.5, v117
	v_sub_f32_e32 v88, v88, v89
	v_mov_b32_e32 v117, v99
	v_fmac_f32_e32 v117, 0xbf5db3d7, v88
	v_fmac_f32_e32 v99, 0x3f5db3d7, v88
	v_add_f32_e32 v88, v92, v90
	v_mul_f32_e32 v183, v120, v83
	v_mul_f32_e32 v167, v118, v35
	v_add_f32_e32 v118, v88, v91
	v_add_f32_e32 v88, v90, v91
	v_fmac_f32_e32 v183, v121, v82
	v_fma_f32 v92, -0.5, v88, v92
	v_sub_f32_e32 v88, v181, v183
	v_mov_b32_e32 v120, v92
	v_fmac_f32_e32 v120, 0x3f5db3d7, v88
	v_fmac_f32_e32 v92, 0xbf5db3d7, v88
	v_add_f32_e32 v88, v93, v181
	v_fmac_f32_e32 v167, v119, v34
	v_add_f32_e32 v119, v88, v183
	v_add_f32_e32 v88, v181, v183
	v_fmac_f32_e32 v93, -0.5, v88
	v_add_f32_e32 v114, v114, v89
	v_sub_f32_e32 v88, v90, v91
	v_mov_b32_e32 v121, v93
	v_add_f32_e32 v89, v185, v187
	v_fmac_f32_e32 v121, 0xbf5db3d7, v88
	v_fmac_f32_e32 v93, 0x3f5db3d7, v88
	v_add_f32_e32 v88, v84, v185
	v_fmac_f32_e32 v84, -0.5, v89
	v_sub_f32_e32 v89, v162, v167
	v_mov_b32_e32 v90, v84
	v_add_f32_e32 v91, v162, v167
	v_fmac_f32_e32 v90, 0x3f5db3d7, v89
	v_fmac_f32_e32 v84, 0xbf5db3d7, v89
	v_add_f32_e32 v89, v85, v162
	v_fmac_f32_e32 v85, -0.5, v91
	v_sub_f32_e32 v122, v185, v187
	v_mov_b32_e32 v91, v85
	v_add_f32_e32 v88, v88, v187
	v_add_f32_e32 v89, v89, v167
	v_fmac_f32_e32 v91, 0xbf5db3d7, v122
	v_fmac_f32_e32 v85, 0x3f5db3d7, v122
	v_lshl_add_u32 v167, v165, 3, v166
	v_add_f32_e32 v94, v94, v163
	v_add_f32_e32 v107, v107, v178
	;; [unrolled: 1-line block ×5, first 2 shown]
	ds_write_b64 v167, v[104:105] offset:3200
	ds_write_b64 v167, v[100:101] offset:6400
	ds_write2_b64 v164, v[94:95], v[106:107] offset1:75
	ds_write_b64 v167, v[108:109] offset:3800
	ds_write_b64 v167, v[102:103] offset:7000
	ds_write_b64 v164, v[110:111] offset:1200
	ds_write_b64 v164, v[112:113] offset:4400
	ds_write_b64 v164, v[96:97] offset:7600
	ds_write_b64 v167, v[114:115] offset:1800
	ds_write_b64 v164, v[116:117] offset:5000
	ds_write_b64 v164, v[98:99] offset:8200
	ds_write_b64 v167, v[118:119] offset:2400
	ds_write_b64 v164, v[120:121] offset:5600
	ds_write_b64 v164, v[92:93] offset:8800
	s_and_saveexec_b64 s[14:15], s[4:5]
	s_cbranch_execz .LBB0_15
; %bb.14:
	ds_write_b64 v167, v[88:89] offset:3000
	ds_write_b64 v167, v[90:91] offset:6200
	;; [unrolled: 1-line block ×3, first 2 shown]
.LBB0_15:
	s_or_b64 exec, exec, s[14:15]
	v_mov_b32_e32 v92, s13
	v_addc_co_u32_e64 v98, vcc, 0, v92, s[2:3]
	v_add_co_u32_e32 v92, vcc, 0x2580, v127
	v_addc_co_u32_e32 v93, vcc, 0, v98, vcc
	v_add_co_u32_e32 v94, vcc, 0x2000, v127
	v_addc_co_u32_e32 v95, vcc, 0, v98, vcc
	s_movk_i32 s2, 0x3000
	v_add_co_u32_e32 v96, vcc, s2, v127
	v_addc_co_u32_e32 v97, vcc, 0, v98, vcc
	s_waitcnt lgkmcnt(0)
	s_barrier
	global_load_dwordx2 v[105:106], v[92:93], off offset:1920
	global_load_dwordx2 v[121:122], v[96:97], off offset:1752
	;; [unrolled: 1-line block ×5, first 2 shown]
	s_movk_i32 s2, 0x4000
	v_add_co_u32_e32 v94, vcc, s2, v127
	v_addc_co_u32_e32 v95, vcc, 0, v98, vcc
	global_load_dwordx2 v[187:188], v[94:95], off offset:896
	global_load_dwordx2 v[189:190], v[92:93], off offset:600
	;; [unrolled: 1-line block ×10, first 2 shown]
	ds_read2_b64 v[95:98], v164 offset1:75
	ds_read2_b64 v[99:102], v164 offset0:150 offset1:240
	v_add_u32_e32 v104, 0xc00, v164
	v_add_u32_e32 v103, 0x1000, v164
	;; [unrolled: 1-line block ×5, first 2 shown]
	ds_read2_b64 v[109:112], v104 offset0:96 offset1:171
	ds_read2_b64 v[113:116], v103 offset0:118 offset1:208
	;; [unrolled: 1-line block ×5, first 2 shown]
	s_movk_i32 s12, 0x1000
	s_waitcnt vmcnt(9) lgkmcnt(2)
	v_mul_f32_e32 v212, v118, v188
	v_mul_f32_e32 v207, v96, v163
	;; [unrolled: 1-line block ×10, first 2 shown]
	s_waitcnt vmcnt(8)
	v_mul_f32_e32 v213, v98, v190
	v_mul_f32_e32 v188, v97, v190
	v_fma_f32 v207, v95, v162, -v207
	v_fmac_f32_e32 v208, v96, v162
	v_fma_f32 v162, v101, v105, -v209
	v_fmac_f32_e32 v163, v102, v105
	;; [unrolled: 2-line block ×6, first 2 shown]
	s_waitcnt vmcnt(5)
	v_mul_f32_e32 v97, v120, v196
	v_mul_f32_e32 v98, v119, v196
	v_fma_f32 v97, v119, v195, -v97
	v_fmac_f32_e32 v98, v120, v195
	ds_write2_b64 v108, v[185:186], v[97:98] offset0:64 offset1:139
	s_waitcnt vmcnt(4)
	v_mul_f32_e32 v97, v100, v198
	v_mul_f32_e32 v98, v99, v198
	v_fma_f32 v97, v99, v197, -v97
	v_fmac_f32_e32 v98, v100, v197
	s_waitcnt lgkmcnt(2)
	v_mul_f32_e32 v214, v176, v192
	v_mul_f32_e32 v190, v175, v192
	ds_write2_b64 v164, v[97:98], v[162:163] offset0:150 offset1:240
	s_waitcnt vmcnt(3)
	v_mul_f32_e32 v97, v178, v200
	v_mul_f32_e32 v98, v177, v200
	v_fma_f32 v189, v175, v191, -v214
	v_fmac_f32_e32 v190, v176, v191
	v_fma_f32 v97, v177, v199, -v97
	v_fmac_f32_e32 v98, v178, v199
	ds_write2_b64 v107, v[189:190], v[97:98] offset0:59 offset1:134
	s_waitcnt vmcnt(1)
	v_mul_f32_e32 v97, v114, v204
	v_mul_f32_e32 v98, v113, v204
	v_fma_f32 v97, v113, v203, -v97
	v_fmac_f32_e32 v98, v114, v203
	ds_write2_b64 v103, v[97:98], v[183:184] offset0:118 offset1:208
	ds_read_b64 v[97:98], v164 offset:8880
	s_waitcnt lgkmcnt(5)
	v_mul_f32_e32 v95, v180, v194
	v_mul_f32_e32 v96, v179, v194
	;; [unrolled: 1-line block ×4, first 2 shown]
	v_fma_f32 v95, v179, v193, -v95
	v_fmac_f32_e32 v96, v180, v193
	v_fma_f32 v99, v181, v201, -v99
	v_fmac_f32_e32 v100, v182, v201
	v_mul_f32_e32 v215, v112, v122
	v_mul_f32_e32 v192, v111, v122
	ds_write2_b64 v94, v[95:96], v[99:100] offset0:27 offset1:102
	s_waitcnt vmcnt(0) lgkmcnt(1)
	v_mul_f32_e32 v95, v98, v206
	v_mul_f32_e32 v96, v97, v206
	v_fma_f32 v191, v111, v121, -v215
	v_fmac_f32_e32 v192, v112, v121
	v_fma_f32 v95, v97, v205, -v95
	v_fmac_f32_e32 v96, v98, v205
	ds_write2_b64 v164, v[207:208], v[187:188] offset1:75
	ds_write2_b64 v104, v[105:106], v[191:192] offset0:96 offset1:171
	ds_write_b64 v164, v[95:96] offset:8880
	s_and_saveexec_b64 s[2:3], s[0:1]
	s_cbranch_execz .LBB0_17
; %bb.16:
	global_load_dwordx2 v[95:96], v[92:93], off offset:1800
	v_add_co_u32_e32 v97, vcc, s12, v92
	v_addc_co_u32_e32 v98, vcc, 0, v93, vcc
	v_add_co_u32_e32 v99, vcc, 0x2000, v92
	v_addc_co_u32_e32 v100, vcc, 0, v93, vcc
	global_load_dwordx2 v[105:106], v[92:93], off offset:3720
	global_load_dwordx2 v[109:110], v[97:98], off offset:1544
	;; [unrolled: 1-line block ×3, first 2 shown]
	ds_read_b64 v[97:98], v167 offset:1800
	global_load_dwordx2 v[92:93], v[99:100], off offset:1288
	v_add_u32_e32 v116, 0xe80, v164
	v_add_u32_e32 v117, 0x1d80, v164
	s_waitcnt vmcnt(4) lgkmcnt(0)
	v_mul_f32_e32 v99, v98, v96
	v_mul_f32_e32 v100, v97, v96
	v_fma_f32 v99, v97, v95, -v99
	v_fmac_f32_e32 v100, v98, v95
	ds_write_b64 v167, v[99:100] offset:1800
	ds_read2_b64 v[95:98], v116 offset0:1 offset1:241
	ds_read2_b64 v[99:102], v117 offset0:1 offset1:241
	s_waitcnt vmcnt(3) lgkmcnt(1)
	v_mul_f32_e32 v114, v96, v106
	v_mul_f32_e32 v113, v95, v106
	s_waitcnt vmcnt(2)
	v_mul_f32_e32 v118, v98, v110
	v_mul_f32_e32 v106, v97, v110
	s_waitcnt vmcnt(1) lgkmcnt(0)
	v_mul_f32_e32 v119, v100, v112
	v_mul_f32_e32 v110, v99, v112
	s_waitcnt vmcnt(0)
	v_mul_f32_e32 v120, v102, v93
	v_mul_f32_e32 v115, v101, v93
	v_fma_f32 v112, v95, v105, -v114
	v_fmac_f32_e32 v113, v96, v105
	v_fma_f32 v105, v97, v109, -v118
	v_fmac_f32_e32 v106, v98, v109
	;; [unrolled: 2-line block ×4, first 2 shown]
	ds_write2_b64 v116, v[112:113], v[105:106] offset0:1 offset1:241
	ds_write2_b64 v117, v[109:110], v[114:115] offset0:1 offset1:241
.LBB0_17:
	s_or_b64 exec, exec, s[2:3]
	s_waitcnt lgkmcnt(0)
	s_barrier
	ds_read2_b64 v[99:102], v164 offset1:75
	ds_read2_b64 v[95:98], v164 offset0:150 offset1:240
	ds_read2_b64 v[115:118], v104 offset0:96 offset1:171
	;; [unrolled: 1-line block ×6, first 2 shown]
	ds_read_b64 v[92:93], v164 offset:8880
	s_and_saveexec_b64 s[2:3], s[0:1]
	s_cbranch_execz .LBB0_19
; %bb.18:
	v_add_u32_e32 v84, 0x700, v167
	ds_read2_b64 v[88:91], v84 offset0:1 offset1:241
	v_add_u32_e32 v84, 0x1600, v167
	ds_read2_b64 v[84:87], v84 offset0:1 offset1:241
	ds_read_b64 v[123:124], v167 offset:9480
.LBB0_19:
	s_or_b64 exec, exec, s[2:3]
	s_waitcnt lgkmcnt(6)
	v_add_f32_e32 v94, v99, v97
	s_waitcnt lgkmcnt(5)
	v_add_f32_e32 v94, v94, v115
	;; [unrolled: 2-line block ×4, first 2 shown]
	v_add_f32_e32 v94, v115, v105
	v_fma_f32 v177, -0.5, v94, v99
	v_sub_f32_e32 v94, v98, v120
	v_mov_b32_e32 v179, v177
	v_fmac_f32_e32 v179, 0xbf737871, v94
	v_sub_f32_e32 v162, v116, v106
	v_sub_f32_e32 v163, v97, v115
	;; [unrolled: 1-line block ×3, first 2 shown]
	v_fmac_f32_e32 v177, 0x3f737871, v94
	v_fmac_f32_e32 v179, 0xbf167918, v162
	v_add_f32_e32 v163, v163, v176
	v_fmac_f32_e32 v177, 0x3f167918, v162
	v_fmac_f32_e32 v179, 0x3e9e377a, v163
	;; [unrolled: 1-line block ×3, first 2 shown]
	v_add_f32_e32 v163, v97, v119
	v_fma_f32 v99, -0.5, v163, v99
	v_mov_b32_e32 v181, v99
	v_fmac_f32_e32 v181, 0x3f737871, v162
	v_fmac_f32_e32 v99, 0xbf737871, v162
	;; [unrolled: 1-line block ×4, first 2 shown]
	v_add_f32_e32 v94, v100, v98
	v_add_f32_e32 v94, v94, v116
	v_sub_f32_e32 v163, v115, v97
	v_sub_f32_e32 v176, v105, v119
	v_add_f32_e32 v94, v94, v106
	v_add_f32_e32 v163, v163, v176
	;; [unrolled: 1-line block ×4, first 2 shown]
	v_fma_f32 v178, -0.5, v94, v100
	v_sub_f32_e32 v94, v97, v119
	v_mov_b32_e32 v180, v178
	v_fmac_f32_e32 v180, 0x3f737871, v94
	v_sub_f32_e32 v97, v115, v105
	v_sub_f32_e32 v105, v98, v116
	;; [unrolled: 1-line block ×3, first 2 shown]
	v_fmac_f32_e32 v178, 0xbf737871, v94
	v_fmac_f32_e32 v180, 0x3f167918, v97
	v_add_f32_e32 v105, v105, v115
	v_fmac_f32_e32 v178, 0xbf167918, v97
	v_fmac_f32_e32 v180, 0x3e9e377a, v105
	;; [unrolled: 1-line block ×3, first 2 shown]
	v_add_f32_e32 v105, v98, v120
	v_fma_f32 v100, -0.5, v105, v100
	v_mov_b32_e32 v182, v100
	v_fmac_f32_e32 v182, 0xbf737871, v97
	v_fmac_f32_e32 v100, 0x3f737871, v97
	v_fmac_f32_e32 v182, 0x3f167918, v94
	v_fmac_f32_e32 v100, 0xbf167918, v94
	s_waitcnt lgkmcnt(2)
	v_add_f32_e32 v94, v101, v107
	v_add_f32_e32 v94, v94, v117
	s_waitcnt lgkmcnt(1)
	v_add_f32_e32 v94, v94, v111
	v_sub_f32_e32 v98, v116, v98
	v_sub_f32_e32 v105, v106, v120
	v_add_f32_e32 v97, v94, v121
	v_add_f32_e32 v94, v117, v111
	;; [unrolled: 1-line block ×3, first 2 shown]
	v_fma_f32 v105, -0.5, v94, v101
	v_sub_f32_e32 v94, v108, v122
	v_mov_b32_e32 v115, v105
	v_fmac_f32_e32 v182, 0x3e9e377a, v98
	v_fmac_f32_e32 v100, 0x3e9e377a, v98
	v_fmac_f32_e32 v115, 0xbf737871, v94
	v_sub_f32_e32 v98, v118, v112
	v_sub_f32_e32 v106, v107, v117
	;; [unrolled: 1-line block ×3, first 2 shown]
	v_fmac_f32_e32 v105, 0x3f737871, v94
	v_fmac_f32_e32 v115, 0xbf167918, v98
	v_add_f32_e32 v106, v106, v116
	v_fmac_f32_e32 v105, 0x3f167918, v98
	v_fmac_f32_e32 v115, 0x3e9e377a, v106
	;; [unrolled: 1-line block ×3, first 2 shown]
	v_add_f32_e32 v106, v107, v121
	v_fma_f32 v101, -0.5, v106, v101
	v_mov_b32_e32 v119, v101
	v_fmac_f32_e32 v119, 0x3f737871, v98
	v_fmac_f32_e32 v101, 0xbf737871, v98
	v_fmac_f32_e32 v119, 0xbf167918, v94
	v_fmac_f32_e32 v101, 0x3f167918, v94
	v_add_f32_e32 v94, v102, v108
	v_add_f32_e32 v94, v94, v118
	v_sub_f32_e32 v106, v117, v107
	v_sub_f32_e32 v116, v111, v121
	v_add_f32_e32 v94, v94, v112
	v_add_f32_e32 v106, v106, v116
	;; [unrolled: 1-line block ×4, first 2 shown]
	v_fmac_f32_e32 v119, 0x3e9e377a, v106
	v_fmac_f32_e32 v101, 0x3e9e377a, v106
	v_fma_f32 v106, -0.5, v94, v102
	v_sub_f32_e32 v94, v107, v121
	v_mov_b32_e32 v116, v106
	v_fmac_f32_e32 v116, 0x3f737871, v94
	v_sub_f32_e32 v107, v117, v111
	v_sub_f32_e32 v111, v108, v118
	;; [unrolled: 1-line block ×3, first 2 shown]
	v_fmac_f32_e32 v106, 0xbf737871, v94
	v_fmac_f32_e32 v116, 0x3f167918, v107
	v_add_f32_e32 v111, v111, v117
	v_fmac_f32_e32 v106, 0xbf167918, v107
	v_fmac_f32_e32 v116, 0x3e9e377a, v111
	;; [unrolled: 1-line block ×3, first 2 shown]
	v_add_f32_e32 v111, v108, v122
	v_fmac_f32_e32 v102, -0.5, v111
	v_mov_b32_e32 v120, v102
	v_fmac_f32_e32 v120, 0xbf737871, v107
	v_fmac_f32_e32 v102, 0x3f737871, v107
	v_fmac_f32_e32 v120, 0x3f167918, v94
	v_fmac_f32_e32 v102, 0xbf167918, v94
	v_add_f32_e32 v94, v95, v109
	v_add_f32_e32 v94, v94, v103
	;; [unrolled: 1-line block ×3, first 2 shown]
	v_sub_f32_e32 v108, v118, v108
	v_sub_f32_e32 v111, v112, v122
	s_waitcnt lgkmcnt(0)
	v_add_f32_e32 v107, v94, v92
	v_add_f32_e32 v94, v103, v113
	v_add_f32_e32 v108, v108, v111
	v_fma_f32 v111, -0.5, v94, v95
	v_sub_f32_e32 v94, v110, v93
	v_mov_b32_e32 v117, v111
	v_fmac_f32_e32 v120, 0x3e9e377a, v108
	v_fmac_f32_e32 v102, 0x3e9e377a, v108
	;; [unrolled: 1-line block ×3, first 2 shown]
	v_sub_f32_e32 v108, v104, v114
	v_sub_f32_e32 v112, v109, v103
	;; [unrolled: 1-line block ×3, first 2 shown]
	v_fmac_f32_e32 v111, 0x3f737871, v94
	v_fmac_f32_e32 v117, 0xbf167918, v108
	v_add_f32_e32 v112, v112, v118
	v_fmac_f32_e32 v111, 0x3f167918, v108
	v_fmac_f32_e32 v117, 0x3e9e377a, v112
	;; [unrolled: 1-line block ×3, first 2 shown]
	v_add_f32_e32 v112, v109, v92
	v_fma_f32 v121, -0.5, v112, v95
	v_mov_b32_e32 v183, v121
	v_fmac_f32_e32 v183, 0x3f737871, v108
	v_fmac_f32_e32 v121, 0xbf737871, v108
	v_fmac_f32_e32 v183, 0xbf167918, v94
	v_fmac_f32_e32 v121, 0x3f167918, v94
	v_add_f32_e32 v94, v96, v110
	v_add_f32_e32 v94, v94, v104
	;; [unrolled: 1-line block ×3, first 2 shown]
	v_sub_f32_e32 v95, v103, v109
	v_sub_f32_e32 v112, v113, v92
	v_add_f32_e32 v108, v94, v93
	v_add_f32_e32 v94, v104, v114
	;; [unrolled: 1-line block ×3, first 2 shown]
	v_fma_f32 v112, -0.5, v94, v96
	v_sub_f32_e32 v92, v109, v92
	v_mov_b32_e32 v118, v112
	v_fmac_f32_e32 v183, 0x3e9e377a, v95
	v_fmac_f32_e32 v121, 0x3e9e377a, v95
	;; [unrolled: 1-line block ×3, first 2 shown]
	v_sub_f32_e32 v94, v103, v113
	v_sub_f32_e32 v95, v110, v104
	v_sub_f32_e32 v103, v93, v114
	v_fmac_f32_e32 v112, 0xbf737871, v92
	v_fmac_f32_e32 v118, 0x3f167918, v94
	v_add_f32_e32 v95, v95, v103
	v_fmac_f32_e32 v112, 0xbf167918, v94
	v_fmac_f32_e32 v118, 0x3e9e377a, v95
	;; [unrolled: 1-line block ×3, first 2 shown]
	v_add_f32_e32 v95, v110, v93
	v_fmac_f32_e32 v96, -0.5, v95
	v_mov_b32_e32 v184, v96
	v_fmac_f32_e32 v184, 0xbf737871, v94
	v_sub_f32_e32 v95, v104, v110
	v_sub_f32_e32 v93, v114, v93
	v_fmac_f32_e32 v96, 0x3f737871, v94
	v_fmac_f32_e32 v184, 0x3f167918, v92
	v_add_f32_e32 v93, v95, v93
	v_fmac_f32_e32 v96, 0xbf167918, v92
	v_fmac_f32_e32 v184, 0x3e9e377a, v93
	;; [unrolled: 1-line block ×3, first 2 shown]
	v_add_f32_e32 v93, v84, v86
	v_fma_f32 v162, -0.5, v93, v88
	v_sub_f32_e32 v93, v91, v124
	v_mov_b32_e32 v94, v162
	v_fmac_f32_e32 v94, 0xbf737871, v93
	v_sub_f32_e32 v95, v85, v87
	v_sub_f32_e32 v103, v90, v84
	;; [unrolled: 1-line block ×3, first 2 shown]
	v_fmac_f32_e32 v162, 0x3f737871, v93
	v_fmac_f32_e32 v94, 0xbf167918, v95
	v_add_f32_e32 v103, v103, v104
	v_fmac_f32_e32 v162, 0x3f167918, v95
	v_fmac_f32_e32 v94, 0x3e9e377a, v103
	;; [unrolled: 1-line block ×3, first 2 shown]
	v_add_f32_e32 v103, v90, v123
	v_add_f32_e32 v92, v88, v90
	v_fmac_f32_e32 v88, -0.5, v103
	v_mov_b32_e32 v103, v88
	v_fmac_f32_e32 v103, 0x3f737871, v95
	v_fmac_f32_e32 v88, 0xbf737871, v95
	v_add_f32_e32 v95, v85, v87
	v_fmac_f32_e32 v181, 0x3e9e377a, v163
	v_fmac_f32_e32 v99, 0x3e9e377a, v163
	v_sub_f32_e32 v104, v84, v90
	v_sub_f32_e32 v109, v86, v123
	v_fma_f32 v163, -0.5, v95, v89
	v_add_f32_e32 v92, v92, v84
	v_fmac_f32_e32 v103, 0xbf167918, v93
	v_add_f32_e32 v104, v104, v109
	v_fmac_f32_e32 v88, 0x3f167918, v93
	v_sub_f32_e32 v90, v90, v123
	v_mov_b32_e32 v95, v163
	v_add_f32_e32 v92, v92, v86
	v_fmac_f32_e32 v103, 0x3e9e377a, v104
	v_fmac_f32_e32 v88, 0x3e9e377a, v104
	;; [unrolled: 1-line block ×3, first 2 shown]
	v_sub_f32_e32 v84, v84, v86
	v_sub_f32_e32 v86, v91, v85
	;; [unrolled: 1-line block ×3, first 2 shown]
	v_fmac_f32_e32 v163, 0xbf737871, v90
	v_fmac_f32_e32 v95, 0x3f167918, v84
	v_add_f32_e32 v86, v86, v104
	v_fmac_f32_e32 v163, 0xbf167918, v84
	v_fmac_f32_e32 v95, 0x3e9e377a, v86
	;; [unrolled: 1-line block ×3, first 2 shown]
	v_add_f32_e32 v86, v91, v124
	v_add_f32_e32 v93, v89, v91
	v_fmac_f32_e32 v89, -0.5, v86
	v_mov_b32_e32 v104, v89
	v_add_f32_e32 v93, v93, v85
	v_fmac_f32_e32 v104, 0xbf737871, v84
	v_sub_f32_e32 v85, v85, v91
	v_sub_f32_e32 v86, v87, v124
	v_fmac_f32_e32 v89, 0x3f737871, v84
	v_add_f32_e32 v93, v93, v87
	v_fmac_f32_e32 v104, 0x3f167918, v90
	v_add_f32_e32 v85, v85, v86
	;; [unrolled: 2-line block ×3, first 2 shown]
	v_add_f32_e32 v93, v93, v124
	v_fmac_f32_e32 v104, 0x3e9e377a, v85
	v_fmac_f32_e32 v89, 0x3e9e377a, v85
	v_mov_b32_e32 v122, v96
	s_barrier
	ds_write2_b64 v125, v[175:176], v[179:180] offset1:1
	ds_write2_b64 v125, v[181:182], v[99:100] offset0:2 offset1:3
	ds_write_b64 v125, v[177:178] offset:32
	ds_write2_b64 v126, v[97:98], v[115:116] offset1:1
	ds_write2_b64 v126, v[119:120], v[101:102] offset0:2 offset1:3
	ds_write_b64 v126, v[105:106] offset:32
	;; [unrolled: 3-line block ×3, first 2 shown]
	s_and_saveexec_b64 s[2:3], s[0:1]
	s_cbranch_execz .LBB0_21
; %bb.20:
	v_lshl_add_u32 v86, v169, 3, v166
	v_mov_b32_e32 v84, v88
	v_mov_b32_e32 v85, v89
	ds_write2_b64 v86, v[92:93], v[94:95] offset1:1
	ds_write2_b64 v86, v[103:104], v[84:85] offset0:2 offset1:3
	ds_write_b64 v86, v[162:163] offset:32
.LBB0_21:
	s_or_b64 exec, exec, s[2:3]
	v_add_u32_e32 v90, 0xc00, v164
	s_waitcnt lgkmcnt(0)
	s_barrier
	ds_read2_b64 v[96:99], v164 offset1:75
	ds_read2_b64 v[84:87], v164 offset0:150 offset1:240
	ds_read2_b64 v[123:126], v90 offset0:96 offset1:171
	v_add_u32_e32 v90, 0x1000, v164
	ds_read2_b64 v[107:110], v90 offset0:118 offset1:208
	v_add_u32_e32 v90, 0x1c00, v164
	;; [unrolled: 2-line block ×4, first 2 shown]
	ds_read2_b64 v[111:114], v90 offset0:27 offset1:102
	ds_read_b64 v[90:91], v164 offset:8880
	s_and_saveexec_b64 s[2:3], s[0:1]
	s_cbranch_execz .LBB0_23
; %bb.22:
	v_add_u32_e32 v89, 0x1600, v164
	v_add_u32_e32 v88, 0x700, v164
	ds_read2_b64 v[103:106], v89 offset0:1 offset1:241
	ds_read_b64 v[162:163], v164 offset:9480
	ds_read2_b64 v[92:95], v88 offset0:1 offset1:241
	s_waitcnt lgkmcnt(2)
	v_mov_b32_e32 v88, v105
	v_mov_b32_e32 v89, v106
.LBB0_23:
	s_or_b64 exec, exec, s[2:3]
	s_waitcnt lgkmcnt(4)
	v_mul_f32_e32 v105, v1, v110
	v_mul_f32_e32 v1, v1, v109
	v_fmac_f32_e32 v105, v0, v109
	v_fma_f32 v106, v0, v110, -v1
	s_waitcnt lgkmcnt(3)
	v_mul_f32_e32 v109, v3, v120
	v_mul_f32_e32 v0, v3, v119
	v_fmac_f32_e32 v109, v2, v119
	v_fma_f32 v110, v2, v120, -v0
	s_waitcnt lgkmcnt(2)
	v_mul_f32_e32 v119, v13, v116
	v_mul_f32_e32 v0, v13, v115
	v_fmac_f32_e32 v119, v12, v115
	v_fma_f32 v12, v12, v116, -v0
	v_mul_f32_e32 v13, v15, v126
	v_mul_f32_e32 v0, v15, v125
	v_fmac_f32_e32 v13, v14, v125
	v_fma_f32 v14, v14, v126, -v0
	s_waitcnt lgkmcnt(1)
	v_mul_f32_e32 v15, v9, v112
	v_mul_f32_e32 v0, v9, v111
	v_fmac_f32_e32 v15, v8, v111
	v_fma_f32 v8, v8, v112, -v0
	v_mul_f32_e32 v9, v11, v122
	v_mul_f32_e32 v0, v11, v121
	v_fmac_f32_e32 v9, v10, v121
	v_fma_f32 v10, v10, v122, -v0
	v_mul_f32_e32 v0, v21, v117
	v_mul_f32_e32 v100, v5, v87
	v_mul_f32_e32 v5, v5, v86
	v_fma_f32 v111, v20, v118, -v0
	v_mul_f32_e32 v112, v23, v108
	v_mul_f32_e32 v0, v23, v107
	v_fmac_f32_e32 v100, v4, v86
	v_fma_f32 v101, v4, v87, -v5
	v_mul_f32_e32 v87, v7, v124
	v_fmac_f32_e32 v112, v22, v107
	v_fma_f32 v108, v22, v108, -v0
	v_mul_f32_e32 v107, v17, v114
	v_mul_f32_e32 v0, v17, v113
	v_fmac_f32_e32 v87, v6, v123
	v_fmac_f32_e32 v107, v16, v113
	v_fma_f32 v16, v16, v114, -v0
	s_waitcnt lgkmcnt(0)
	v_mul_f32_e32 v17, v19, v91
	v_mul_f32_e32 v0, v19, v90
	v_add_f32_e32 v19, v96, v100
	v_add_f32_e32 v19, v19, v87
	v_mul_f32_e32 v11, v21, v118
	v_add_f32_e32 v19, v19, v105
	v_fmac_f32_e32 v11, v20, v117
	v_mul_f32_e32 v2, v31, v103
	v_add_f32_e32 v20, v19, v109
	v_add_f32_e32 v19, v87, v105
	v_mul_f32_e32 v4, v7, v123
	v_fma_f32 v5, v30, v104, -v2
	v_mul_f32_e32 v2, v25, v89
	v_mul_f32_e32 v3, v25, v88
	v_fma_f32 v22, -0.5, v19, v96
	v_fma_f32 v102, v6, v124, -v4
	v_fmac_f32_e32 v2, v24, v88
	v_fma_f32 v6, v24, v89, -v3
	v_sub_f32_e32 v19, v101, v110
	v_mov_b32_e32 v24, v22
	v_fmac_f32_e32 v24, 0xbf737871, v19
	v_sub_f32_e32 v21, v102, v106
	v_sub_f32_e32 v23, v100, v87
	;; [unrolled: 1-line block ×3, first 2 shown]
	v_fmac_f32_e32 v22, 0x3f737871, v19
	v_fmac_f32_e32 v24, 0xbf167918, v21
	v_add_f32_e32 v23, v23, v25
	v_fmac_f32_e32 v22, 0x3f167918, v21
	v_mul_f32_e32 v3, v27, v163
	v_mul_f32_e32 v7, v27, v162
	v_fmac_f32_e32 v24, 0x3e9e377a, v23
	v_fmac_f32_e32 v22, 0x3e9e377a, v23
	v_add_f32_e32 v23, v100, v109
	v_fmac_f32_e32 v3, v26, v162
	v_fma_f32 v7, v26, v163, -v7
	v_fma_f32 v26, -0.5, v23, v96
	v_mov_b32_e32 v86, v26
	v_fmac_f32_e32 v86, 0x3f737871, v21
	v_fmac_f32_e32 v26, 0xbf737871, v21
	;; [unrolled: 1-line block ×4, first 2 shown]
	v_add_f32_e32 v19, v97, v101
	v_add_f32_e32 v19, v19, v102
	v_sub_f32_e32 v23, v87, v100
	v_sub_f32_e32 v25, v105, v109
	v_add_f32_e32 v19, v19, v106
	v_add_f32_e32 v23, v23, v25
	;; [unrolled: 1-line block ×4, first 2 shown]
	v_fmac_f32_e32 v86, 0x3e9e377a, v23
	v_fmac_f32_e32 v26, 0x3e9e377a, v23
	v_fma_f32 v23, -0.5, v19, v97
	v_fmac_f32_e32 v17, v18, v90
	v_fma_f32 v18, v18, v91, -v0
	v_mul_f32_e32 v0, v29, v95
	v_mul_f32_e32 v1, v29, v94
	v_sub_f32_e32 v19, v100, v109
	v_mov_b32_e32 v25, v23
	v_fmac_f32_e32 v0, v28, v94
	v_fma_f32 v4, v28, v95, -v1
	v_fmac_f32_e32 v25, 0x3f737871, v19
	v_sub_f32_e32 v28, v87, v105
	v_sub_f32_e32 v27, v101, v102
	;; [unrolled: 1-line block ×3, first 2 shown]
	v_fmac_f32_e32 v23, 0xbf737871, v19
	v_fmac_f32_e32 v25, 0x3f167918, v28
	v_add_f32_e32 v27, v27, v29
	v_fmac_f32_e32 v23, 0xbf167918, v28
	v_fmac_f32_e32 v25, 0x3e9e377a, v27
	;; [unrolled: 1-line block ×3, first 2 shown]
	v_add_f32_e32 v27, v101, v110
	v_fma_f32 v27, -0.5, v27, v97
	v_mov_b32_e32 v87, v27
	v_fmac_f32_e32 v87, 0xbf737871, v28
	v_fmac_f32_e32 v27, 0x3f737871, v28
	v_fmac_f32_e32 v87, 0x3f167918, v19
	v_fmac_f32_e32 v27, 0xbf167918, v19
	v_add_f32_e32 v19, v98, v119
	v_add_f32_e32 v19, v19, v13
	;; [unrolled: 1-line block ×3, first 2 shown]
	v_mul_f32_e32 v1, v31, v104
	v_add_f32_e32 v88, v19, v9
	v_add_f32_e32 v19, v13, v15
	v_fmac_f32_e32 v1, v30, v103
	v_sub_f32_e32 v29, v102, v101
	v_sub_f32_e32 v30, v106, v110
	v_fma_f32 v90, -0.5, v19, v98
	v_add_f32_e32 v29, v29, v30
	v_sub_f32_e32 v19, v12, v10
	v_mov_b32_e32 v94, v90
	v_fmac_f32_e32 v87, 0x3e9e377a, v29
	v_fmac_f32_e32 v27, 0x3e9e377a, v29
	;; [unrolled: 1-line block ×3, first 2 shown]
	v_sub_f32_e32 v28, v14, v8
	v_sub_f32_e32 v29, v119, v13
	v_sub_f32_e32 v30, v9, v15
	v_fmac_f32_e32 v90, 0x3f737871, v19
	v_fmac_f32_e32 v94, 0xbf167918, v28
	v_add_f32_e32 v29, v29, v30
	v_fmac_f32_e32 v90, 0x3f167918, v28
	v_fmac_f32_e32 v94, 0x3e9e377a, v29
	;; [unrolled: 1-line block ×3, first 2 shown]
	v_add_f32_e32 v29, v119, v9
	v_fma_f32 v98, -0.5, v29, v98
	v_mov_b32_e32 v96, v98
	v_fmac_f32_e32 v96, 0x3f737871, v28
	v_fmac_f32_e32 v98, 0xbf737871, v28
	v_fmac_f32_e32 v96, 0xbf167918, v19
	v_fmac_f32_e32 v98, 0x3f167918, v19
	v_add_f32_e32 v19, v99, v12
	v_add_f32_e32 v19, v19, v14
	;; [unrolled: 1-line block ×5, first 2 shown]
	v_fma_f32 v91, -0.5, v19, v99
	v_sub_f32_e32 v30, v15, v9
	v_sub_f32_e32 v9, v119, v9
	v_mov_b32_e32 v95, v91
	v_sub_f32_e32 v29, v13, v119
	v_fmac_f32_e32 v95, 0x3f737871, v9
	v_sub_f32_e32 v13, v13, v15
	v_sub_f32_e32 v15, v12, v14
	;; [unrolled: 1-line block ×3, first 2 shown]
	v_fmac_f32_e32 v91, 0xbf737871, v9
	v_fmac_f32_e32 v95, 0x3f167918, v13
	v_add_f32_e32 v15, v15, v19
	v_fmac_f32_e32 v91, 0xbf167918, v13
	v_fmac_f32_e32 v95, 0x3e9e377a, v15
	;; [unrolled: 1-line block ×3, first 2 shown]
	v_add_f32_e32 v15, v12, v10
	v_fmac_f32_e32 v99, -0.5, v15
	v_mov_b32_e32 v97, v99
	v_fmac_f32_e32 v97, 0xbf737871, v13
	v_sub_f32_e32 v12, v14, v12
	v_sub_f32_e32 v8, v8, v10
	v_fmac_f32_e32 v99, 0x3f737871, v13
	v_fmac_f32_e32 v97, 0x3f167918, v9
	v_add_f32_e32 v8, v12, v8
	v_fmac_f32_e32 v99, 0xbf167918, v9
	v_fmac_f32_e32 v97, 0x3e9e377a, v8
	;; [unrolled: 1-line block ×3, first 2 shown]
	v_add_f32_e32 v8, v84, v11
	v_add_f32_e32 v8, v8, v112
	;; [unrolled: 1-line block ×5, first 2 shown]
	v_fma_f32 v102, -0.5, v8, v84
	v_sub_f32_e32 v8, v111, v18
	v_mov_b32_e32 v104, v102
	v_fmac_f32_e32 v104, 0xbf737871, v8
	v_sub_f32_e32 v9, v108, v16
	v_sub_f32_e32 v10, v11, v112
	;; [unrolled: 1-line block ×3, first 2 shown]
	v_fmac_f32_e32 v102, 0x3f737871, v8
	v_fmac_f32_e32 v104, 0xbf167918, v9
	v_add_f32_e32 v10, v10, v12
	v_fmac_f32_e32 v102, 0x3f167918, v9
	v_fmac_f32_e32 v104, 0x3e9e377a, v10
	;; [unrolled: 1-line block ×3, first 2 shown]
	v_add_f32_e32 v10, v11, v17
	v_fma_f32 v84, -0.5, v10, v84
	v_mov_b32_e32 v106, v84
	v_fmac_f32_e32 v106, 0x3f737871, v9
	v_fmac_f32_e32 v84, 0xbf737871, v9
	v_fmac_f32_e32 v106, 0xbf167918, v8
	v_fmac_f32_e32 v84, 0x3f167918, v8
	v_add_f32_e32 v8, v85, v111
	v_add_f32_e32 v8, v8, v108
	v_add_f32_e32 v8, v8, v16
	v_add_f32_e32 v101, v8, v18
	v_add_f32_e32 v8, v108, v16
	v_sub_f32_e32 v10, v112, v11
	v_sub_f32_e32 v12, v107, v17
	v_fma_f32 v103, -0.5, v8, v85
	v_add_f32_e32 v10, v10, v12
	v_sub_f32_e32 v8, v11, v17
	v_mov_b32_e32 v105, v103
	v_fmac_f32_e32 v106, 0x3e9e377a, v10
	v_fmac_f32_e32 v84, 0x3e9e377a, v10
	;; [unrolled: 1-line block ×3, first 2 shown]
	v_sub_f32_e32 v9, v112, v107
	v_sub_f32_e32 v10, v111, v108
	;; [unrolled: 1-line block ×3, first 2 shown]
	v_fmac_f32_e32 v103, 0xbf737871, v8
	v_fmac_f32_e32 v105, 0x3f167918, v9
	v_add_f32_e32 v10, v10, v11
	v_fmac_f32_e32 v103, 0xbf167918, v9
	v_fmac_f32_e32 v105, 0x3e9e377a, v10
	;; [unrolled: 1-line block ×3, first 2 shown]
	v_add_f32_e32 v10, v111, v18
	v_fmac_f32_e32 v85, -0.5, v10
	v_mov_b32_e32 v107, v85
	v_fmac_f32_e32 v107, 0xbf737871, v9
	v_sub_f32_e32 v11, v16, v18
	v_fmac_f32_e32 v85, 0x3f737871, v9
	v_sub_f32_e32 v9, v0, v1
	v_sub_f32_e32 v12, v3, v2
	v_sub_f32_e32 v13, v1, v0
	v_sub_f32_e32 v14, v2, v3
	v_sub_f32_e32 v17, v4, v5
	v_sub_f32_e32 v18, v7, v6
	v_fmac_f32_e32 v107, 0x3f167918, v8
	v_sub_f32_e32 v10, v108, v111
	v_fmac_f32_e32 v85, 0xbf167918, v8
	v_add_f32_e32 v8, v1, v2
	v_add_f32_e32 v12, v9, v12
	;; [unrolled: 1-line block ×9, first 2 shown]
	v_fma_f32 v8, -0.5, v8, v92
	v_fma_f32 v9, -0.5, v9, v92
	;; [unrolled: 1-line block ×4, first 2 shown]
	v_fmac_f32_e32 v96, 0x3e9e377a, v29
	v_fmac_f32_e32 v98, 0x3e9e377a, v29
	;; [unrolled: 1-line block ×4, first 2 shown]
	v_sub_f32_e32 v10, v4, v7
	v_mov_b32_e32 v28, v8
	v_sub_f32_e32 v11, v5, v6
	v_mov_b32_e32 v30, v9
	;; [unrolled: 2-line block ×4, first 2 shown]
	v_fmac_f32_e32 v28, 0xbf737871, v10
	v_fmac_f32_e32 v30, 0x3f737871, v11
	v_fmac_f32_e32 v29, 0x3f737871, v15
	v_fmac_f32_e32 v31, 0xbf737871, v16
	v_sub_f32_e32 v19, v5, v4
	v_sub_f32_e32 v108, v6, v7
	v_fmac_f32_e32 v28, 0xbf167918, v11
	v_fmac_f32_e32 v30, 0xbf167918, v10
	;; [unrolled: 1-line block ×4, first 2 shown]
	v_add_f32_e32 v19, v19, v108
	v_fmac_f32_e32 v28, 0x3e9e377a, v12
	v_fmac_f32_e32 v30, 0x3e9e377a, v14
	;; [unrolled: 1-line block ×4, first 2 shown]
	s_barrier
	ds_write2_b64 v171, v[20:21], v[24:25] offset1:5
	ds_write2_b64 v171, v[86:87], v[26:27] offset0:10 offset1:15
	ds_write_b64 v171, v[22:23] offset:160
	ds_write2_b64 v172, v[88:89], v[94:95] offset1:5
	ds_write2_b64 v172, v[96:97], v[98:99] offset0:10 offset1:15
	ds_write_b64 v172, v[90:91] offset:160
	;; [unrolled: 3-line block ×3, first 2 shown]
	s_and_saveexec_b64 s[2:3], s[0:1]
	s_cbranch_execz .LBB0_25
; %bb.24:
	v_mul_f32_e32 v21, 0x3f167918, v11
	v_mul_f32_e32 v11, 0x3f737871, v11
	v_add_f32_e32 v4, v93, v4
	v_mul_f32_e32 v23, 0x3f167918, v10
	v_add_f32_e32 v4, v4, v5
	v_sub_f32_e32 v5, v9, v11
	v_add_f32_e32 v0, v92, v0
	v_mul_f32_e32 v20, 0x3f737871, v10
	v_mul_f32_e32 v22, 0x3e9e377a, v12
	;; [unrolled: 1-line block ×5, first 2 shown]
	v_add_f32_e32 v5, v23, v5
	v_add_f32_e32 v0, v0, v1
	v_mul_f32_e32 v24, 0x3f167918, v16
	v_mul_f32_e32 v15, 0x3f167918, v15
	v_add_f32_e32 v10, v10, v17
	v_sub_f32_e32 v12, v13, v12
	v_add_f32_e32 v4, v4, v6
	v_add_f32_e32 v9, v14, v5
	;; [unrolled: 1-line block ×4, first 2 shown]
	v_mul_f32_e32 v18, 0x3e9e377a, v18
	v_mul_f32_e32 v16, 0x3e9e377a, v19
	v_sub_f32_e32 v10, v10, v15
	v_sub_f32_e32 v12, v12, v24
	v_add_f32_e32 v4, v4, v7
	v_add_f32_e32 v5, v21, v5
	;; [unrolled: 1-line block ×3, first 2 shown]
	v_lshl_add_u32 v0, v170, 3, v166
	v_add_f32_e32 v10, v16, v10
	v_add_f32_e32 v12, v18, v12
	;; [unrolled: 1-line block ×3, first 2 shown]
	ds_write2_b64 v0, v[3:4], v[28:29] offset1:5
	ds_write2_b64 v0, v[30:31], v[9:10] offset0:10 offset1:15
	ds_write_b64 v0, v[11:12] offset:160
.LBB0_25:
	s_or_b64 exec, exec, s[2:3]
	s_waitcnt lgkmcnt(0)
	s_barrier
	ds_read2_b64 v[0:3], v164 offset1:75
	ds_read2_b64 v[4:7], v164 offset0:150 offset1:225
	v_add_u32_e32 v88, 0x800, v164
	ds_read2_b64 v[8:11], v88 offset0:44 offset1:119
	v_add_u32_e32 v89, 0xc00, v164
	s_waitcnt lgkmcnt(2)
	v_mul_f32_e32 v92, v57, v3
	v_fmac_f32_e32 v92, v56, v2
	v_mul_f32_e32 v2, v57, v2
	v_fma_f32 v2, v56, v3, -v2
	s_waitcnt lgkmcnt(1)
	v_mul_f32_e32 v3, v59, v5
	v_fmac_f32_e32 v3, v58, v4
	v_mul_f32_e32 v4, v59, v4
	v_fma_f32 v4, v58, v5, -v4
	v_mul_f32_e32 v5, v49, v7
	ds_read2_b64 v[12:15], v89 offset0:66 offset1:141
	v_fmac_f32_e32 v5, v48, v6
	v_mul_f32_e32 v6, v49, v6
	v_fma_f32 v6, v48, v7, -v6
	s_waitcnt lgkmcnt(1)
	v_mul_f32_e32 v7, v51, v9
	v_fmac_f32_e32 v7, v50, v8
	v_mul_f32_e32 v8, v51, v8
	v_add_u32_e32 v90, 0x1000, v164
	v_fma_f32 v8, v50, v9, -v8
	v_mul_f32_e32 v9, v41, v11
	ds_read2_b64 v[16:19], v90 offset0:88 offset1:163
	v_fmac_f32_e32 v9, v40, v10
	v_mul_f32_e32 v10, v41, v10
	v_fma_f32 v10, v40, v11, -v10
	s_waitcnt lgkmcnt(1)
	v_mul_f32_e32 v11, v43, v13
	v_fmac_f32_e32 v11, v42, v12
	v_mul_f32_e32 v12, v43, v12
	v_add_u32_e32 v20, 0x1400, v164
	;; [unrolled: 11-line block ×4, first 2 shown]
	v_fma_f32 v20, v62, v21, -v20
	v_mul_f32_e32 v21, v53, v23
	ds_read2_b64 v[84:87], v84 offset0:26 offset1:101
	v_fmac_f32_e32 v21, v52, v22
	v_mul_f32_e32 v22, v53, v22
	v_fma_f32 v22, v52, v23, -v22
	s_waitcnt lgkmcnt(1)
	v_mul_f32_e32 v23, v55, v25
	v_fmac_f32_e32 v23, v54, v24
	v_mul_f32_e32 v24, v55, v24
	v_fma_f32 v24, v54, v25, -v24
	v_mul_f32_e32 v25, v45, v27
	v_fmac_f32_e32 v25, v44, v26
	v_mul_f32_e32 v26, v45, v26
	v_fma_f32 v26, v44, v27, -v26
	s_waitcnt lgkmcnt(0)
	v_mul_f32_e32 v27, v47, v85
	v_mul_f32_e32 v36, v47, v84
	;; [unrolled: 1-line block ×3, first 2 shown]
	v_fmac_f32_e32 v27, v46, v84
	v_fma_f32 v36, v46, v85, -v36
	v_fmac_f32_e32 v37, v160, v86
	v_mul_f32_e32 v38, v161, v86
	v_sub_f32_e32 v15, v0, v15
	v_sub_f32_e32 v16, v1, v16
	;; [unrolled: 1-line block ×4, first 2 shown]
	v_fma_f32 v38, v160, v87, -v38
	v_fma_f32 v7, v7, 2.0, -v23
	v_fma_f32 v8, v8, 2.0, -v24
	v_sub_f32_e32 v19, v3, v19
	v_sub_f32_e32 v20, v4, v20
	;; [unrolled: 1-line block ×8, first 2 shown]
	v_add_f32_e32 v24, v15, v24
	v_sub_f32_e32 v23, v16, v23
	v_fma_f32 v0, v0, 2.0, -v15
	v_fma_f32 v3, v3, 2.0, -v19
	;; [unrolled: 1-line block ×4, first 2 shown]
	v_sub_f32_e32 v18, v2, v18
	v_fma_f32 v39, v92, 2.0, -v17
	v_sub_f32_e32 v26, v10, v26
	v_fma_f32 v9, v9, 2.0, -v25
	;; [unrolled: 2-line block ×4, first 2 shown]
	v_fma_f32 v15, v15, 2.0, -v24
	v_add_f32_e32 v36, v19, v36
	v_sub_f32_e32 v27, v20, v27
	v_mov_b32_e32 v47, v23
	v_fma_f32 v1, v1, 2.0, -v16
	v_fma_f32 v4, v4, 2.0, -v20
	;; [unrolled: 1-line block ×6, first 2 shown]
	v_sub_f32_e32 v7, v0, v7
	v_fma_f32 v16, v16, 2.0, -v23
	v_sub_f32_e32 v11, v3, v11
	v_fma_f32 v19, v19, 2.0, -v36
	v_sub_f32_e32 v9, v39, v9
	v_sub_f32_e32 v13, v5, v13
	v_mov_b32_e32 v42, v15
	v_mov_b32_e32 v46, v24
	v_fmac_f32_e32 v47, 0x3f3504f3, v27
	v_sub_f32_e32 v8, v1, v8
	v_fma_f32 v0, v0, 2.0, -v7
	v_sub_f32_e32 v12, v4, v12
	v_fma_f32 v3, v3, 2.0, -v11
	v_fma_f32 v20, v20, 2.0, -v27
	v_sub_f32_e32 v10, v2, v10
	v_fma_f32 v39, v39, 2.0, -v9
	v_add_f32_e32 v26, v17, v26
	v_sub_f32_e32 v14, v6, v14
	v_fma_f32 v5, v5, 2.0, -v13
	v_fmac_f32_e32 v42, 0xbf3504f3, v19
	v_mov_b32_e32 v43, v16
	v_fmac_f32_e32 v46, 0x3f3504f3, v36
	v_fmac_f32_e32 v47, 0xbf3504f3, v36
	v_fma_f32 v1, v1, 2.0, -v8
	v_fma_f32 v4, v4, 2.0, -v12
	;; [unrolled: 1-line block ×3, first 2 shown]
	v_sub_f32_e32 v25, v18, v25
	v_fma_f32 v17, v17, 2.0, -v26
	v_fma_f32 v6, v6, 2.0, -v14
	v_add_f32_e32 v38, v21, v38
	v_sub_f32_e32 v40, v0, v3
	v_fmac_f32_e32 v43, 0xbf3504f3, v20
	v_fmac_f32_e32 v42, 0x3f3504f3, v20
	v_sub_f32_e32 v45, v8, v11
	v_fmac_f32_e32 v46, 0x3f3504f3, v27
	v_fma_f32 v20, v23, 2.0, -v47
	v_sub_f32_e32 v23, v39, v5
	v_fma_f32 v18, v18, 2.0, -v25
	v_sub_f32_e32 v37, v22, v37
	v_fma_f32 v21, v21, 2.0, -v38
	v_sub_f32_e32 v41, v1, v4
	v_fma_f32 v3, v0, 2.0, -v40
	v_fmac_f32_e32 v43, 0xbf3504f3, v19
	v_add_f32_e32 v44, v7, v12
	v_fma_f32 v12, v8, 2.0, -v45
	v_fma_f32 v19, v24, 2.0, -v46
	v_sub_f32_e32 v24, v2, v6
	v_fma_f32 v0, v39, 2.0, -v23
	v_mov_b32_e32 v27, v17
	v_add_f32_e32 v39, v9, v14
	v_sub_f32_e32 v48, v10, v13
	v_mov_b32_e32 v50, v25
	v_fma_f32 v22, v22, 2.0, -v37
	v_fma_f32 v4, v1, 2.0, -v41
	;; [unrolled: 1-line block ×4, first 2 shown]
	v_fmac_f32_e32 v27, 0xbf3504f3, v21
	v_mov_b32_e32 v36, v18
	v_fma_f32 v13, v9, 2.0, -v39
	v_fma_f32 v10, v10, 2.0, -v48
	v_mov_b32_e32 v49, v26
	v_fmac_f32_e32 v50, 0x3f3504f3, v37
	v_mov_b32_e32 v9, v12
	v_fma_f32 v15, v15, 2.0, -v42
	v_fmac_f32_e32 v36, 0xbf3504f3, v22
	v_fmac_f32_e32 v27, 0x3f3504f3, v22
	v_fmac_f32_e32 v49, 0x3f3504f3, v38
	v_fmac_f32_e32 v50, 0xbf3504f3, v38
	v_sub_f32_e32 v0, v3, v0
	v_sub_f32_e32 v1, v4, v1
	v_mov_b32_e32 v8, v11
	v_fmac_f32_e32 v9, 0xbf3504f3, v10
	v_fma_f32 v16, v16, 2.0, -v43
	v_fmac_f32_e32 v36, 0xbf3504f3, v21
	v_fma_f32 v6, v17, 2.0, -v27
	;; [unrolled: 2-line block ×3, first 2 shown]
	v_fma_f32 v2, v3, 2.0, -v0
	v_fma_f32 v3, v4, 2.0, -v1
	v_mov_b32_e32 v4, v15
	v_fmac_f32_e32 v8, 0xbf3504f3, v13
	v_fmac_f32_e32 v9, 0xbf3504f3, v13
	v_mov_b32_e32 v13, v20
	v_fma_f32 v7, v18, 2.0, -v36
	v_fma_f32 v14, v26, 2.0, -v49
	v_fmac_f32_e32 v4, 0xbf6c835e, v6
	v_mov_b32_e32 v5, v16
	v_fmac_f32_e32 v13, 0xbec3ef15, v17
	v_fmac_f32_e32 v5, 0xbf6c835e, v7
	;; [unrolled: 1-line block ×5, first 2 shown]
	v_fma_f32 v6, v15, 2.0, -v4
	v_fma_f32 v15, v20, 2.0, -v13
	v_mov_b32_e32 v20, v42
	v_fmac_f32_e32 v8, 0x3f3504f3, v10
	v_fmac_f32_e32 v20, 0x3ec3ef15, v27
	v_mov_b32_e32 v21, v43
	v_fma_f32 v7, v16, 2.0, -v5
	v_fma_f32 v10, v11, 2.0, -v8
	;; [unrolled: 1-line block ×3, first 2 shown]
	v_mov_b32_e32 v12, v19
	v_add_f32_e32 v16, v40, v24
	v_fmac_f32_e32 v21, 0x3ec3ef15, v36
	v_fmac_f32_e32 v20, 0x3f6c835e, v36
	v_mov_b32_e32 v24, v44
	v_mov_b32_e32 v25, v45
	;; [unrolled: 1-line block ×4, first 2 shown]
	v_fmac_f32_e32 v12, 0xbec3ef15, v14
	v_fmac_f32_e32 v24, 0x3f3504f3, v39
	;; [unrolled: 1-line block ×6, first 2 shown]
	v_sub_f32_e32 v17, v41, v23
	v_fmac_f32_e32 v21, 0xbf6c835e, v27
	v_fmac_f32_e32 v24, 0x3f3504f3, v48
	;; [unrolled: 1-line block ×5, first 2 shown]
	v_fma_f32 v14, v19, 2.0, -v12
	v_fma_f32 v18, v40, 2.0, -v16
	;; [unrolled: 1-line block ×9, first 2 shown]
	s_barrier
	ds_write2_b64 v174, v[2:3], v[6:7] offset1:25
	ds_write2_b64 v174, v[10:11], v[14:15] offset0:50 offset1:75
	ds_write2_b64 v174, v[18:19], v[22:23] offset0:100 offset1:125
	;; [unrolled: 1-line block ×4, first 2 shown]
	v_add_u32_e32 v0, 0x400, v174
	ds_write2_b64 v0, v[8:9], v[12:13] offset0:122 offset1:147
	v_add_u32_e32 v0, 0x800, v174
	ds_write2_b64 v0, v[16:17], v[20:21] offset0:44 offset1:69
	ds_write2_b64 v0, v[24:25], v[36:37] offset0:94 offset1:119
	s_waitcnt lgkmcnt(0)
	s_barrier
	ds_read2_b64 v[8:11], v164 offset1:75
	ds_read2_b64 v[0:3], v88 offset0:44 offset1:144
	ds_read2_b64 v[24:27], v91 offset0:32 offset1:107
	;; [unrolled: 1-line block ×4, first 2 shown]
	v_add_u32_e32 v12, 0x1c00, v164
	ds_read2_b64 v[16:19], v12 offset0:54 offset1:129
	ds_read2_b64 v[12:15], v90 offset0:113 offset1:188
	ds_read_b64 v[38:39], v164 offset:8800
	v_add_u32_e32 v42, 0x4b0, v164
	v_add_u32_e32 v41, 0x708, v164
	;; [unrolled: 1-line block ×3, first 2 shown]
	s_and_saveexec_b64 s[2:3], s[4:5]
	s_cbranch_execz .LBB0_27
; %bb.26:
	ds_read_b64 v[36:37], v164 offset:3000
	ds_read_b64 v[28:29], v164 offset:6200
	;; [unrolled: 1-line block ×3, first 2 shown]
.LBB0_27:
	s_or_b64 exec, exec, s[2:3]
	s_waitcnt lgkmcnt(6)
	v_mul_f32_e32 v43, v65, v3
	v_fmac_f32_e32 v43, v64, v2
	v_mul_f32_e32 v2, v65, v2
	v_fma_f32 v44, v64, v3, -v2
	s_waitcnt lgkmcnt(5)
	v_mul_f32_e32 v45, v67, v25
	v_mul_f32_e32 v2, v67, v24
	v_fmac_f32_e32 v45, v66, v24
	v_fma_f32 v24, v66, v25, -v2
	s_waitcnt lgkmcnt(4)
	v_mul_f32_e32 v25, v69, v21
	v_mul_f32_e32 v2, v69, v20
	v_fmac_f32_e32 v25, v68, v20
	v_fma_f32 v20, v68, v21, -v2
	v_mul_f32_e32 v21, v71, v27
	v_mul_f32_e32 v2, v71, v26
	v_fmac_f32_e32 v21, v70, v26
	v_fma_f32 v26, v70, v27, -v2
	;; [unrolled: 4-line block ×3, first 2 shown]
	s_waitcnt lgkmcnt(2)
	v_mul_f32_e32 v2, v75, v16
	v_fma_f32 v46, v74, v17, -v2
	s_waitcnt lgkmcnt(1)
	v_mul_f32_e32 v2, v77, v12
	v_fma_f32 v48, v76, v13, -v2
	v_mul_f32_e32 v2, v79, v18
	v_fma_f32 v50, v78, v19, -v2
	;; [unrolled: 2-line block ×3, first 2 shown]
	s_waitcnt lgkmcnt(0)
	v_mul_f32_e32 v2, v83, v38
	v_add_f32_e32 v3, v43, v45
	v_mul_f32_e32 v47, v77, v13
	v_mul_f32_e32 v53, v83, v39
	v_fma_f32 v39, v82, v39, -v2
	v_add_f32_e32 v2, v8, v43
	v_fma_f32 v8, -0.5, v3, v8
	v_fmac_f32_e32 v47, v76, v12
	v_sub_f32_e32 v3, v44, v24
	v_mov_b32_e32 v12, v8
	v_add_f32_e32 v13, v44, v24
	v_mul_f32_e32 v51, v81, v15
	v_fmac_f32_e32 v12, 0xbf5db3d7, v3
	v_fmac_f32_e32 v8, 0x3f5db3d7, v3
	v_add_f32_e32 v3, v9, v44
	v_fma_f32 v9, -0.5, v13, v9
	v_fmac_f32_e32 v51, v80, v14
	v_sub_f32_e32 v14, v43, v45
	v_mov_b32_e32 v13, v9
	v_add_f32_e32 v15, v25, v21
	v_mul_f32_e32 v23, v75, v17
	v_fmac_f32_e32 v13, 0x3f5db3d7, v14
	v_fmac_f32_e32 v9, 0xbf5db3d7, v14
	;; [unrolled: 9-line block ×3, first 2 shown]
	v_add_f32_e32 v15, v11, v20
	v_fmac_f32_e32 v11, -0.5, v17
	v_fmac_f32_e32 v49, v78, v18
	v_sub_f32_e32 v18, v25, v21
	v_mov_b32_e32 v17, v11
	v_add_f32_e32 v19, v27, v23
	v_fmac_f32_e32 v17, 0x3f5db3d7, v18
	v_fmac_f32_e32 v11, 0xbf5db3d7, v18
	v_add_f32_e32 v18, v4, v27
	v_fma_f32 v4, -0.5, v19, v4
	v_add_f32_e32 v14, v14, v21
	v_sub_f32_e32 v19, v22, v46
	v_mov_b32_e32 v20, v4
	v_add_f32_e32 v21, v22, v46
	v_fmac_f32_e32 v20, 0xbf5db3d7, v19
	v_fmac_f32_e32 v4, 0x3f5db3d7, v19
	v_add_f32_e32 v19, v5, v22
	v_fma_f32 v5, -0.5, v21, v5
	v_add_f32_e32 v18, v18, v23
	;; [unrolled: 8-line block ×3, first 2 shown]
	v_sub_f32_e32 v23, v48, v50
	v_mov_b32_e32 v24, v6
	v_add_f32_e32 v25, v48, v50
	v_fmac_f32_e32 v53, v82, v38
	v_fmac_f32_e32 v24, 0xbf5db3d7, v23
	;; [unrolled: 1-line block ×3, first 2 shown]
	v_add_f32_e32 v23, v7, v48
	v_fmac_f32_e32 v7, -0.5, v25
	v_add_f32_e32 v15, v15, v26
	v_sub_f32_e32 v26, v47, v49
	v_mov_b32_e32 v25, v7
	v_add_f32_e32 v27, v51, v53
	v_fmac_f32_e32 v25, 0x3f5db3d7, v26
	v_fmac_f32_e32 v7, 0xbf5db3d7, v26
	v_add_f32_e32 v26, v0, v51
	v_fma_f32 v0, -0.5, v27, v0
	v_sub_f32_e32 v27, v52, v39
	v_mov_b32_e32 v38, v0
	v_fmac_f32_e32 v38, 0xbf5db3d7, v27
	v_fmac_f32_e32 v0, 0x3f5db3d7, v27
	v_add_f32_e32 v27, v1, v52
	v_add_f32_e32 v27, v27, v39
	;; [unrolled: 1-line block ×3, first 2 shown]
	v_fmac_f32_e32 v1, -0.5, v39
	v_add_f32_e32 v2, v2, v45
	v_sub_f32_e32 v43, v51, v53
	v_mov_b32_e32 v39, v1
	v_add_f32_e32 v19, v19, v46
	v_add_f32_e32 v22, v22, v49
	v_add_f32_e32 v23, v23, v50
	v_add_f32_e32 v26, v26, v53
	v_fmac_f32_e32 v39, 0x3f5db3d7, v43
	v_fmac_f32_e32 v1, 0xbf5db3d7, v43
	ds_write_b64 v164, v[2:3]
	ds_write_b64 v167, v[12:13] offset:3200
	ds_write_b64 v167, v[8:9] offset:6400
	;; [unrolled: 1-line block ×14, first 2 shown]
	s_and_saveexec_b64 s[2:3], s[4:5]
	s_cbranch_execz .LBB0_29
; %bb.28:
	v_mul_f32_e32 v0, v33, v28
	v_fma_f32 v2, v32, v29, -v0
	v_mul_f32_e32 v0, v35, v30
	v_fma_f32 v4, v34, v31, -v0
	v_add_f32_e32 v0, v2, v4
	v_mul_f32_e32 v6, v33, v29
	v_mul_f32_e32 v7, v35, v31
	v_fma_f32 v1, -0.5, v0, v37
	v_fmac_f32_e32 v6, v32, v28
	v_fmac_f32_e32 v7, v34, v30
	v_sub_f32_e32 v0, v6, v7
	v_mov_b32_e32 v3, v1
	v_fmac_f32_e32 v3, 0xbf5db3d7, v0
	v_fmac_f32_e32 v1, 0x3f5db3d7, v0
	v_add_f32_e32 v0, v37, v2
	v_add_f32_e32 v5, v0, v4
	;; [unrolled: 1-line block ×3, first 2 shown]
	v_fma_f32 v0, -0.5, v0, v36
	v_sub_f32_e32 v4, v2, v4
	v_mov_b32_e32 v2, v0
	v_fmac_f32_e32 v2, 0x3f5db3d7, v4
	v_fmac_f32_e32 v0, 0xbf5db3d7, v4
	v_add_f32_e32 v4, v36, v6
	v_add_f32_e32 v4, v4, v7
	ds_write_b64 v164, v[4:5] offset:3000
	ds_write_b64 v164, v[0:1] offset:6200
	;; [unrolled: 1-line block ×3, first 2 shown]
.LBB0_29:
	s_or_b64 exec, exec, s[2:3]
	v_mad_u64_u32 v[8:9], s[2:3], s10, v151, 0
	s_waitcnt lgkmcnt(0)
	s_barrier
	ds_read2_b64 v[0:3], v164 offset1:75
	v_mov_b32_e32 v4, v9
	v_mad_u64_u32 v[4:5], s[2:3], s11, v151, v[4:5]
	s_mov_b32 s2, 0xb4e81b4f
	s_waitcnt lgkmcnt(0)
	v_mul_f32_e32 v5, v159, v1
	v_fmac_f32_e32 v5, v158, v0
	v_cvt_f64_f32_e32 v[5:6], v5
	s_mov_b32 s3, 0x3f4b4e81
	v_mul_f32_e32 v0, v159, v0
	v_fma_f32 v0, v158, v1, -v0
	v_mul_f64 v[5:6], v[5:6], s[2:3]
	v_cvt_f64_f32_e32 v[0:1], v0
	v_mad_u64_u32 v[10:11], s[4:5], s8, v165, 0
	v_mov_b32_e32 v9, v4
	v_mul_f64 v[0:1], v[0:1], s[2:3]
	v_mov_b32_e32 v4, v11
	v_mov_b32_e32 v14, s7
	v_mad_u64_u32 v[11:12], s[4:5], s9, v165, v[4:5]
	v_cvt_f32_f64_e32 v12, v[5:6]
	ds_read2_b64 v[4:7], v164 offset0:150 offset1:240
	s_mul_i32 s4, s9, 0xf0
	v_cvt_f32_f64_e32 v13, v[0:1]
	v_lshlrev_b64 v[0:1], 3, v[8:9]
	s_mul_hi_u32 s5, s8, 0xf0
	s_waitcnt lgkmcnt(0)
	v_mul_f32_e32 v8, v157, v7
	v_fmac_f32_e32 v8, v156, v6
	v_mul_f32_e32 v6, v157, v6
	v_fma_f32 v6, v156, v7, -v6
	v_cvt_f64_f32_e32 v[8:9], v8
	v_cvt_f64_f32_e32 v[6:7], v6
	v_add_co_u32_e32 v15, vcc, s6, v0
	v_addc_co_u32_e32 v16, vcc, v14, v1, vcc
	v_mul_f64 v[0:1], v[8:9], s[2:3]
	v_mul_f64 v[6:7], v[6:7], s[2:3]
	v_lshlrev_b64 v[8:9], 3, v[10:11]
	s_add_i32 s5, s5, s4
	v_add_co_u32_e32 v14, vcc, v15, v8
	v_addc_co_u32_e32 v15, vcc, v16, v9, vcc
	v_cvt_f32_f64_e32 v0, v[0:1]
	v_cvt_f32_f64_e32 v1, v[6:7]
	v_add_u32_e32 v6, 0xc00, v164
	ds_read2_b64 v[6:9], v6 offset0:96 offset1:171
	s_mul_i32 s4, s8, 0xf0
	global_store_dwordx2 v[14:15], v[12:13], off
	s_lshl_b64 s[4:5], s[4:5], 3
	v_mov_b32_e32 v22, s5
	s_waitcnt lgkmcnt(0)
	v_mul_f32_e32 v10, v155, v7
	v_fmac_f32_e32 v10, v154, v6
	v_mul_f32_e32 v6, v155, v6
	v_fma_f32 v6, v154, v7, -v6
	v_cvt_f64_f32_e32 v[16:17], v10
	v_cvt_f64_f32_e32 v[6:7], v6
	v_add_u32_e32 v10, 0x1000, v164
	ds_read2_b64 v[10:13], v10 offset0:118 offset1:208
	v_add_co_u32_e32 v14, vcc, s4, v14
	v_addc_co_u32_e32 v15, vcc, v15, v22, vcc
	global_store_dwordx2 v[14:15], v[0:1], off
	v_mul_f64 v[0:1], v[16:17], s[2:3]
	v_mul_f64 v[6:7], v[6:7], s[2:3]
	s_waitcnt lgkmcnt(0)
	v_mul_f32_e32 v16, v153, v13
	v_fmac_f32_e32 v16, v152, v12
	v_cvt_f64_f32_e32 v[16:17], v16
	v_mul_f32_e32 v12, v153, v12
	v_fma_f32 v12, v152, v13, -v12
	v_cvt_f64_f32_e32 v[12:13], v12
	v_cvt_f32_f64_e32 v0, v[0:1]
	v_cvt_f32_f64_e32 v1, v[6:7]
	v_mul_f64 v[6:7], v[16:17], s[2:3]
	v_mul_f64 v[16:17], v[12:13], s[2:3]
	v_add_co_u32_e32 v18, vcc, s4, v14
	v_add_u32_e32 v12, 0x1c00, v164
	v_addc_co_u32_e32 v19, vcc, v15, v22, vcc
	ds_read2_b64 v[12:15], v12 offset0:64 offset1:139
	global_store_dwordx2 v[18:19], v[0:1], off
	v_cvt_f32_f64_e32 v0, v[6:7]
	v_cvt_f32_f64_e32 v1, v[16:17]
	v_add_co_u32_e32 v16, vcc, s4, v18
	s_waitcnt lgkmcnt(0)
	v_mul_f32_e32 v6, v148, v13
	v_fmac_f32_e32 v6, v147, v12
	v_cvt_f64_f32_e32 v[6:7], v6
	v_mul_f32_e32 v12, v148, v12
	v_fma_f32 v12, v147, v13, -v12
	v_cvt_f64_f32_e32 v[12:13], v12
	v_mul_f64 v[6:7], v[6:7], s[2:3]
	v_mul_f32_e32 v18, v150, v3
	v_fmac_f32_e32 v18, v149, v2
	v_mul_f32_e32 v2, v150, v2
	v_mul_f64 v[12:13], v[12:13], s[2:3]
	v_fma_f32 v2, v149, v3, -v2
	v_addc_co_u32_e32 v17, vcc, v19, v22, vcc
	v_cvt_f64_f32_e32 v[18:19], v18
	v_cvt_f64_f32_e32 v[2:3], v2
	global_store_dwordx2 v[16:17], v[0:1], off
	v_cvt_f32_f64_e32 v0, v[6:7]
	v_mul_f64 v[6:7], v[18:19], s[2:3]
	v_mul_f64 v[2:3], v[2:3], s[2:3]
	v_cvt_f32_f64_e32 v1, v[12:13]
	v_add_co_u32_e32 v12, vcc, s4, v16
	v_addc_co_u32_e32 v13, vcc, v17, v22, vcc
	global_store_dwordx2 v[12:13], v[0:1], off
	v_add_u32_e32 v0, 0x800, v164
	v_cvt_f32_f64_e32 v6, v[6:7]
	v_cvt_f32_f64_e32 v7, v[2:3]
	ds_read2_b64 v[0:3], v0 offset0:59 offset1:134
	s_mul_hi_u32 s7, s8, 0xfffffc8b
	s_mul_i32 s6, s9, 0xfffffc8b
	s_sub_i32 s7, s7, s8
	s_add_i32 s7, s7, s6
	s_waitcnt lgkmcnt(0)
	v_mul_f32_e32 v16, v146, v1
	v_fmac_f32_e32 v16, v145, v0
	v_mul_f32_e32 v0, v146, v0
	v_fma_f32 v0, v145, v1, -v0
	v_cvt_f64_f32_e32 v[16:17], v16
	v_cvt_f64_f32_e32 v[0:1], v0
	s_mul_i32 s6, s8, 0xfffffc8b
	s_lshl_b64 s[6:7], s[6:7], 3
	v_mul_f64 v[16:17], v[16:17], s[2:3]
	v_mul_f64 v[0:1], v[0:1], s[2:3]
	v_mov_b32_e32 v23, s7
	v_add_co_u32_e32 v12, vcc, s6, v12
	v_addc_co_u32_e32 v13, vcc, v13, v23, vcc
	global_store_dwordx2 v[12:13], v[6:7], off
	v_mul_f32_e32 v6, v144, v8
	v_fma_f32 v6, v143, v9, -v6
	v_cvt_f32_f64_e32 v16, v[16:17]
	v_cvt_f32_f64_e32 v17, v[0:1]
	v_mul_f32_e32 v0, v144, v9
	v_cvt_f64_f32_e32 v[18:19], v6
	v_add_u32_e32 v6, 0x1800, v164
	v_fmac_f32_e32 v0, v143, v8
	ds_read2_b64 v[6:9], v6 offset0:27 offset1:102
	v_cvt_f64_f32_e32 v[0:1], v0
	v_mul_f64 v[18:19], v[18:19], s[2:3]
	v_add_co_u32_e32 v12, vcc, s4, v12
	s_waitcnt lgkmcnt(0)
	v_mul_f32_e32 v20, v142, v7
	v_fmac_f32_e32 v20, v141, v6
	v_mul_f32_e32 v6, v142, v6
	v_fma_f32 v6, v141, v7, -v6
	v_mul_f64 v[0:1], v[0:1], s[2:3]
	v_cvt_f64_f32_e32 v[6:7], v6
	v_cvt_f64_f32_e32 v[20:21], v20
	v_addc_co_u32_e32 v13, vcc, v13, v22, vcc
	v_mul_f64 v[6:7], v[6:7], s[2:3]
	global_store_dwordx2 v[12:13], v[16:17], off
	v_mul_f64 v[16:17], v[20:21], s[2:3]
	v_cvt_f32_f64_e32 v0, v[0:1]
	v_cvt_f32_f64_e32 v1, v[18:19]
	v_add_co_u32_e32 v12, vcc, s4, v12
	v_addc_co_u32_e32 v13, vcc, v13, v22, vcc
	global_store_dwordx2 v[12:13], v[0:1], off
	v_cvt_f32_f64_e32 v1, v[6:7]
	v_mul_f32_e32 v6, v140, v15
	v_fmac_f32_e32 v6, v139, v14
	v_mul_f32_e32 v14, v140, v14
	v_fma_f32 v14, v139, v15, -v14
	v_cvt_f64_f32_e32 v[6:7], v6
	v_cvt_f64_f32_e32 v[14:15], v14
	v_cvt_f32_f64_e32 v0, v[16:17]
	v_mul_f32_e32 v16, v138, v5
	v_fmac_f32_e32 v16, v137, v4
	v_mul_f32_e32 v4, v138, v4
	v_fma_f32 v4, v137, v5, -v4
	v_mul_f64 v[6:7], v[6:7], s[2:3]
	v_mul_f64 v[14:15], v[14:15], s[2:3]
	v_cvt_f64_f32_e32 v[4:5], v4
	v_add_co_u32_e32 v12, vcc, s4, v12
	v_addc_co_u32_e32 v13, vcc, v13, v22, vcc
	v_mul_f64 v[4:5], v[4:5], s[2:3]
	v_cvt_f64_f32_e32 v[16:17], v16
	global_store_dwordx2 v[12:13], v[0:1], off
	v_cvt_f32_f64_e32 v0, v[6:7]
	v_cvt_f32_f64_e32 v1, v[14:15]
	v_add_co_u32_e32 v12, vcc, s4, v12
	v_addc_co_u32_e32 v13, vcc, v13, v22, vcc
	v_mul_f64 v[6:7], v[16:17], s[2:3]
	global_store_dwordx2 v[12:13], v[0:1], off
	v_cvt_f32_f64_e32 v1, v[4:5]
	v_mul_f32_e32 v4, v136, v3
	v_fmac_f32_e32 v4, v135, v2
	v_cvt_f64_f32_e32 v[4:5], v4
	v_mul_f32_e32 v2, v136, v2
	v_fma_f32 v2, v135, v3, -v2
	v_cvt_f64_f32_e32 v[2:3], v2
	v_mul_f64 v[4:5], v[4:5], s[2:3]
	v_cvt_f32_f64_e32 v0, v[6:7]
	v_add_co_u32_e32 v6, vcc, s6, v12
	v_mul_f32_e32 v12, v134, v11
	v_fmac_f32_e32 v12, v133, v10
	v_addc_co_u32_e32 v7, vcc, v13, v23, vcc
	v_mul_f64 v[2:3], v[2:3], s[2:3]
	v_cvt_f64_f32_e32 v[12:13], v12
	global_store_dwordx2 v[6:7], v[0:1], off
	v_cvt_f32_f64_e32 v0, v[4:5]
	v_mul_f32_e32 v10, v134, v10
	v_mul_f64 v[4:5], v[12:13], s[2:3]
	v_fma_f32 v10, v133, v11, -v10
	v_cvt_f64_f32_e32 v[10:11], v10
	v_cvt_f32_f64_e32 v1, v[2:3]
	v_add_co_u32_e32 v2, vcc, s4, v6
	v_mul_f64 v[10:11], v[10:11], s[2:3]
	v_addc_co_u32_e32 v3, vcc, v7, v22, vcc
	global_store_dwordx2 v[2:3], v[0:1], off
	v_cvt_f32_f64_e32 v0, v[4:5]
	v_mul_f32_e32 v4, v132, v9
	v_fmac_f32_e32 v4, v131, v8
	v_mul_f32_e32 v6, v132, v8
	v_cvt_f64_f32_e32 v[4:5], v4
	v_fma_f32 v6, v131, v9, -v6
	ds_read_b64 v[8:9], v164 offset:8880
	v_cvt_f32_f64_e32 v1, v[10:11]
	v_mul_f64 v[4:5], v[4:5], s[2:3]
	v_cvt_f64_f32_e32 v[6:7], v6
	v_add_co_u32_e32 v2, vcc, s4, v2
	s_waitcnt lgkmcnt(0)
	v_mul_f32_e32 v10, v130, v9
	v_fmac_f32_e32 v10, v129, v8
	v_mul_f32_e32 v8, v130, v8
	v_fma_f32 v8, v129, v9, -v8
	v_cvt_f64_f32_e32 v[10:11], v10
	v_cvt_f64_f32_e32 v[8:9], v8
	v_mul_f64 v[6:7], v[6:7], s[2:3]
	v_addc_co_u32_e32 v3, vcc, v3, v22, vcc
	global_store_dwordx2 v[2:3], v[0:1], off
	v_cvt_f32_f64_e32 v0, v[4:5]
	v_mul_f64 v[4:5], v[10:11], s[2:3]
	v_mul_f64 v[8:9], v[8:9], s[2:3]
	v_add_co_u32_e32 v2, vcc, s4, v2
	v_cvt_f32_f64_e32 v1, v[6:7]
	v_addc_co_u32_e32 v3, vcc, v3, v22, vcc
	s_movk_i32 s10, 0x1000
	v_cvt_f32_f64_e32 v4, v[4:5]
	v_cvt_f32_f64_e32 v5, v[8:9]
	global_store_dwordx2 v[2:3], v[0:1], off
	v_add_co_u32_e32 v0, vcc, s4, v2
	v_addc_co_u32_e32 v1, vcc, v3, v22, vcc
	global_store_dwordx2 v[0:1], v[4:5], off
	s_and_b64 exec, exec, s[0:1]
	s_cbranch_execz .LBB0_31
; %bb.30:
	global_load_dwordx2 v[2:3], v[127:128], off offset:1800
	ds_read_b64 v[4:5], v167 offset:1800
	v_mov_b32_e32 v10, s5
	s_movk_i32 s0, 0x2000
	s_waitcnt vmcnt(0) lgkmcnt(0)
	v_mul_f32_e32 v6, v5, v3
	v_mul_f32_e32 v3, v4, v3
	v_fmac_f32_e32 v6, v4, v2
	v_fma_f32 v4, v2, v5, -v3
	v_cvt_f64_f32_e32 v[2:3], v6
	v_cvt_f64_f32_e32 v[4:5], v4
	v_mov_b32_e32 v6, s7
	v_mul_f64 v[2:3], v[2:3], s[2:3]
	v_mul_f64 v[4:5], v[4:5], s[2:3]
	v_cvt_f32_f64_e32 v2, v[2:3]
	v_cvt_f32_f64_e32 v3, v[4:5]
	v_add_co_u32_e32 v4, vcc, s6, v0
	v_addc_co_u32_e32 v5, vcc, v1, v6, vcc
	global_store_dwordx2 v[4:5], v[2:3], off
	global_load_dwordx2 v[6:7], v[127:128], off offset:3720
	v_add_u32_e32 v0, 0xe80, v164
	ds_read2_b64 v[0:3], v0 offset0:1 offset1:241
	s_waitcnt vmcnt(0) lgkmcnt(0)
	v_mul_f32_e32 v8, v1, v7
	v_mul_f32_e32 v7, v0, v7
	v_fmac_f32_e32 v8, v0, v6
	v_fma_f32 v6, v6, v1, -v7
	v_cvt_f64_f32_e32 v[0:1], v8
	v_cvt_f64_f32_e32 v[6:7], v6
	v_add_co_u32_e32 v8, vcc, s10, v127
	v_mul_f64 v[0:1], v[0:1], s[2:3]
	v_mul_f64 v[6:7], v[6:7], s[2:3]
	v_addc_co_u32_e32 v9, vcc, 0, v128, vcc
	v_add_co_u32_e32 v4, vcc, s4, v4
	v_addc_co_u32_e32 v5, vcc, v5, v10, vcc
	v_cvt_f32_f64_e32 v0, v[0:1]
	v_cvt_f32_f64_e32 v1, v[6:7]
	global_store_dwordx2 v[4:5], v[0:1], off
	global_load_dwordx2 v[0:1], v[8:9], off offset:1544
	v_add_co_u32_e32 v4, vcc, s4, v4
	v_addc_co_u32_e32 v5, vcc, v5, v10, vcc
	s_waitcnt vmcnt(0)
	v_mul_f32_e32 v6, v3, v1
	v_mul_f32_e32 v1, v2, v1
	v_fmac_f32_e32 v6, v2, v0
	v_fma_f32 v2, v0, v3, -v1
	v_cvt_f64_f32_e32 v[0:1], v6
	v_cvt_f64_f32_e32 v[2:3], v2
	v_mul_f64 v[0:1], v[0:1], s[2:3]
	v_mul_f64 v[2:3], v[2:3], s[2:3]
	v_cvt_f32_f64_e32 v0, v[0:1]
	v_cvt_f32_f64_e32 v1, v[2:3]
	global_store_dwordx2 v[4:5], v[0:1], off
	global_load_dwordx2 v[6:7], v[8:9], off offset:3464
	v_add_u32_e32 v0, 0x1d80, v164
	ds_read2_b64 v[0:3], v0 offset0:1 offset1:241
	s_waitcnt vmcnt(0) lgkmcnt(0)
	v_mul_f32_e32 v8, v1, v7
	v_mul_f32_e32 v7, v0, v7
	v_fmac_f32_e32 v8, v0, v6
	v_fma_f32 v6, v6, v1, -v7
	v_cvt_f64_f32_e32 v[0:1], v8
	v_cvt_f64_f32_e32 v[6:7], v6
	v_add_co_u32_e32 v8, vcc, s0, v127
	v_mul_f64 v[0:1], v[0:1], s[2:3]
	v_mul_f64 v[6:7], v[6:7], s[2:3]
	v_addc_co_u32_e32 v9, vcc, 0, v128, vcc
	v_add_co_u32_e32 v4, vcc, s4, v4
	v_addc_co_u32_e32 v5, vcc, v5, v10, vcc
	v_cvt_f32_f64_e32 v0, v[0:1]
	v_cvt_f32_f64_e32 v1, v[6:7]
	global_store_dwordx2 v[4:5], v[0:1], off
	global_load_dwordx2 v[0:1], v[8:9], off offset:1288
	s_waitcnt vmcnt(0)
	v_mul_f32_e32 v6, v3, v1
	v_mul_f32_e32 v1, v2, v1
	v_fmac_f32_e32 v6, v2, v0
	v_fma_f32 v2, v0, v3, -v1
	v_cvt_f64_f32_e32 v[0:1], v6
	v_cvt_f64_f32_e32 v[2:3], v2
	v_mul_f64 v[0:1], v[0:1], s[2:3]
	v_mul_f64 v[2:3], v[2:3], s[2:3]
	v_cvt_f32_f64_e32 v0, v[0:1]
	v_cvt_f32_f64_e32 v1, v[2:3]
	v_add_co_u32_e32 v2, vcc, s4, v4
	v_addc_co_u32_e32 v3, vcc, v5, v10, vcc
	global_store_dwordx2 v[2:3], v[0:1], off
.LBB0_31:
	s_endpgm
	.section	.rodata,"a",@progbits
	.p2align	6, 0x0
	.amdhsa_kernel bluestein_single_fwd_len1200_dim1_sp_op_CI_CI
		.amdhsa_group_segment_fixed_size 28800
		.amdhsa_private_segment_fixed_size 0
		.amdhsa_kernarg_size 104
		.amdhsa_user_sgpr_count 6
		.amdhsa_user_sgpr_private_segment_buffer 1
		.amdhsa_user_sgpr_dispatch_ptr 0
		.amdhsa_user_sgpr_queue_ptr 0
		.amdhsa_user_sgpr_kernarg_segment_ptr 1
		.amdhsa_user_sgpr_dispatch_id 0
		.amdhsa_user_sgpr_flat_scratch_init 0
		.amdhsa_user_sgpr_private_segment_size 0
		.amdhsa_uses_dynamic_stack 0
		.amdhsa_system_sgpr_private_segment_wavefront_offset 0
		.amdhsa_system_sgpr_workgroup_id_x 1
		.amdhsa_system_sgpr_workgroup_id_y 0
		.amdhsa_system_sgpr_workgroup_id_z 0
		.amdhsa_system_sgpr_workgroup_info 0
		.amdhsa_system_vgpr_workitem_id 0
		.amdhsa_next_free_vgpr 216
		.amdhsa_next_free_sgpr 20
		.amdhsa_reserve_vcc 1
		.amdhsa_reserve_flat_scratch 0
		.amdhsa_float_round_mode_32 0
		.amdhsa_float_round_mode_16_64 0
		.amdhsa_float_denorm_mode_32 3
		.amdhsa_float_denorm_mode_16_64 3
		.amdhsa_dx10_clamp 1
		.amdhsa_ieee_mode 1
		.amdhsa_fp16_overflow 0
		.amdhsa_exception_fp_ieee_invalid_op 0
		.amdhsa_exception_fp_denorm_src 0
		.amdhsa_exception_fp_ieee_div_zero 0
		.amdhsa_exception_fp_ieee_overflow 0
		.amdhsa_exception_fp_ieee_underflow 0
		.amdhsa_exception_fp_ieee_inexact 0
		.amdhsa_exception_int_div_zero 0
	.end_amdhsa_kernel
	.text
.Lfunc_end0:
	.size	bluestein_single_fwd_len1200_dim1_sp_op_CI_CI, .Lfunc_end0-bluestein_single_fwd_len1200_dim1_sp_op_CI_CI
                                        ; -- End function
	.section	.AMDGPU.csdata,"",@progbits
; Kernel info:
; codeLenInByte = 17692
; NumSgprs: 24
; NumVgprs: 216
; ScratchSize: 0
; MemoryBound: 0
; FloatMode: 240
; IeeeMode: 1
; LDSByteSize: 28800 bytes/workgroup (compile time only)
; SGPRBlocks: 2
; VGPRBlocks: 53
; NumSGPRsForWavesPerEU: 24
; NumVGPRsForWavesPerEU: 216
; Occupancy: 1
; WaveLimiterHint : 1
; COMPUTE_PGM_RSRC2:SCRATCH_EN: 0
; COMPUTE_PGM_RSRC2:USER_SGPR: 6
; COMPUTE_PGM_RSRC2:TRAP_HANDLER: 0
; COMPUTE_PGM_RSRC2:TGID_X_EN: 1
; COMPUTE_PGM_RSRC2:TGID_Y_EN: 0
; COMPUTE_PGM_RSRC2:TGID_Z_EN: 0
; COMPUTE_PGM_RSRC2:TIDIG_COMP_CNT: 0
	.type	__hip_cuid_f42bd669e061fb3b,@object ; @__hip_cuid_f42bd669e061fb3b
	.section	.bss,"aw",@nobits
	.globl	__hip_cuid_f42bd669e061fb3b
__hip_cuid_f42bd669e061fb3b:
	.byte	0                               ; 0x0
	.size	__hip_cuid_f42bd669e061fb3b, 1

	.ident	"AMD clang version 19.0.0git (https://github.com/RadeonOpenCompute/llvm-project roc-6.4.0 25133 c7fe45cf4b819c5991fe208aaa96edf142730f1d)"
	.section	".note.GNU-stack","",@progbits
	.addrsig
	.addrsig_sym __hip_cuid_f42bd669e061fb3b
	.amdgpu_metadata
---
amdhsa.kernels:
  - .args:
      - .actual_access:  read_only
        .address_space:  global
        .offset:         0
        .size:           8
        .value_kind:     global_buffer
      - .actual_access:  read_only
        .address_space:  global
        .offset:         8
        .size:           8
        .value_kind:     global_buffer
      - .actual_access:  read_only
        .address_space:  global
        .offset:         16
        .size:           8
        .value_kind:     global_buffer
      - .actual_access:  read_only
        .address_space:  global
        .offset:         24
        .size:           8
        .value_kind:     global_buffer
      - .actual_access:  read_only
        .address_space:  global
        .offset:         32
        .size:           8
        .value_kind:     global_buffer
      - .offset:         40
        .size:           8
        .value_kind:     by_value
      - .address_space:  global
        .offset:         48
        .size:           8
        .value_kind:     global_buffer
      - .address_space:  global
        .offset:         56
        .size:           8
        .value_kind:     global_buffer
      - .address_space:  global
        .offset:         64
        .size:           8
        .value_kind:     global_buffer
      - .address_space:  global
        .offset:         72
        .size:           8
        .value_kind:     global_buffer
      - .offset:         80
        .size:           4
        .value_kind:     by_value
      - .address_space:  global
        .offset:         88
        .size:           8
        .value_kind:     global_buffer
      - .address_space:  global
        .offset:         96
        .size:           8
        .value_kind:     global_buffer
    .group_segment_fixed_size: 28800
    .kernarg_segment_align: 8
    .kernarg_segment_size: 104
    .language:       OpenCL C
    .language_version:
      - 2
      - 0
    .max_flat_workgroup_size: 225
    .name:           bluestein_single_fwd_len1200_dim1_sp_op_CI_CI
    .private_segment_fixed_size: 0
    .sgpr_count:     24
    .sgpr_spill_count: 0
    .symbol:         bluestein_single_fwd_len1200_dim1_sp_op_CI_CI.kd
    .uniform_work_group_size: 1
    .uses_dynamic_stack: false
    .vgpr_count:     216
    .vgpr_spill_count: 0
    .wavefront_size: 64
amdhsa.target:   amdgcn-amd-amdhsa--gfx906
amdhsa.version:
  - 1
  - 2
...

	.end_amdgpu_metadata
